;; amdgpu-corpus repo=pytorch/pytorch kind=compiled arch=gfx906 opt=O3
	.amdgcn_target "amdgcn-amd-amdhsa--gfx906"
	.amdhsa_code_object_version 6
	.section	.text._ZN2at6native12_GLOBAL__N_121max_pool_forward_nhwcIdiEEvPKT_iT0_S6_S6_S6_S6_iiiiiiiiS6_S6_S6_S6_iiPS3_Pl,"axG",@progbits,_ZN2at6native12_GLOBAL__N_121max_pool_forward_nhwcIdiEEvPKT_iT0_S6_S6_S6_S6_iiiiiiiiS6_S6_S6_S6_iiPS3_Pl,comdat
	.globl	_ZN2at6native12_GLOBAL__N_121max_pool_forward_nhwcIdiEEvPKT_iT0_S6_S6_S6_S6_iiiiiiiiS6_S6_S6_S6_iiPS3_Pl ; -- Begin function _ZN2at6native12_GLOBAL__N_121max_pool_forward_nhwcIdiEEvPKT_iT0_S6_S6_S6_S6_iiiiiiiiS6_S6_S6_S6_iiPS3_Pl
	.p2align	8
	.type	_ZN2at6native12_GLOBAL__N_121max_pool_forward_nhwcIdiEEvPKT_iT0_S6_S6_S6_S6_iiiiiiiiS6_S6_S6_S6_iiPS3_Pl,@function
_ZN2at6native12_GLOBAL__N_121max_pool_forward_nhwcIdiEEvPKT_iT0_S6_S6_S6_S6_iiiiiiiiS6_S6_S6_S6_iiPS3_Pl: ; @_ZN2at6native12_GLOBAL__N_121max_pool_forward_nhwcIdiEEvPKT_iT0_S6_S6_S6_S6_iiiiiiiiS6_S6_S6_S6_iiPS3_Pl
; %bb.0:
	s_load_dwordx4 s[0:3], s[4:5], 0x6c
	s_load_dwordx4 s[28:31], s[4:5], 0x48
	s_waitcnt lgkmcnt(0)
	s_lshr_b32 s56, s2, 16
	s_and_b32 s34, s2, 0xffff
	v_mad_u32_u24 v6, v2, s56, v1
	s_and_b32 s33, s3, 0xffff
	v_mad_u64_u32 v[3:4], s[2:3], v6, s34, v[0:1]
	s_mul_i32 s35, s31, s34
	s_mul_i32 s9, s35, s56
	;; [unrolled: 1-line block ×3, first 2 shown]
	v_cmp_gt_u32_e32 vcc, s9, v3
	s_and_saveexec_b64 s[2:3], vcc
	s_cbranch_execz .LBB0_3
; %bb.1:
	s_mul_i32 s12, s56, s34
	s_lshl_b32 s10, s9, 2
	s_mul_i32 s12, s12, s33
	s_add_i32 s10, s10, 0
	v_lshl_add_u32 v7, v3, 3, s10
	s_lshl_b32 s13, s12, 3
	v_mov_b32_e32 v4, 0
	v_lshl_add_u32 v8, v3, 2, 0
	s_lshl_b32 s14, s12, 2
	s_mov_b64 s[10:11], 0
	v_mov_b32_e32 v5, 0xfff00000
.LBB0_2:                                ; =>This Inner Loop Header: Depth=1
	v_add_u32_e32 v3, s12, v3
	v_cmp_le_u32_e32 vcc, s9, v3
	ds_write_b64 v7, v[4:5]
	ds_write_b32 v8, v4
	v_add_u32_e32 v7, s13, v7
	s_or_b64 s[10:11], vcc, s[10:11]
	v_add_u32_e32 v8, s14, v8
	s_andn2_b64 exec, exec, s[10:11]
	s_cbranch_execnz .LBB0_2
.LBB0_3:
	s_or_b64 exec, exec, s[2:3]
	v_cvt_f32_u32_e32 v3, s1
	s_load_dwordx16 s[12:27], s[4:5], 0x8
	s_sub_i32 s2, 0, s1
	s_waitcnt lgkmcnt(0)
	v_rcp_iflag_f32_e32 v3, v3
	s_barrier
	s_add_i32 s3, s16, s1
	s_add_i32 s3, s3, -1
	v_mul_f32_e32 v3, 0x4f7ffffe, v3
	v_cvt_u32_f32_e32 v3, v3
	v_cvt_f32_u32_e32 v4, s12
	v_readfirstlane_b32 s10, v3
	s_mul_i32 s2, s2, s10
	s_mul_hi_u32 s11, s10, s2
	s_add_i32 s10, s10, s11
	s_mul_hi_u32 s10, s3, s10
	v_cvt_f32_u32_e32 v3, s0
	s_mul_i32 s11, s10, s1
	s_sub_i32 s3, s3, s11
	s_add_i32 s11, s10, 1
	s_sub_i32 s36, s3, s1
	v_rcp_iflag_f32_e32 v4, v4
	v_rcp_iflag_f32_e32 v3, v3
	s_cmp_ge_u32 s3, s1
	s_cselect_b32 s10, s11, s10
	s_cselect_b32 s3, s36, s3
	s_add_i32 s11, s10, 1
	s_cmp_ge_u32 s3, s1
	v_mul_f32_e32 v4, 0x4f7ffffe, v4
	v_mul_f32_e32 v3, 0x4f7ffffe, v3
	s_cselect_b32 s3, s11, s10
	v_cvt_u32_f32_e32 v4, v4
	v_cvt_u32_f32_e32 v3, v3
	s_mul_i32 s8, s3, s8
	v_add_u32_e32 v32, s8, v2
	v_add_u32_e32 v2, s3, v32
	v_min_i32_e32 v33, s16, v2
	v_readfirstlane_b32 s2, v4
	v_readfirstlane_b32 s1, v3
	v_cmp_lt_i32_e32 vcc, v32, v33
	s_and_saveexec_b64 s[10:11], vcc
	s_cbranch_execz .LBB0_74
; %bb.4:
	s_sub_i32 s3, 0, s12
	s_mul_i32 s3, s3, s2
	s_mul_hi_u32 s3, s2, s3
	s_add_i32 s2, s2, s3
	s_mul_hi_u32 s8, s6, s2
	s_add_i32 s2, s17, s0
	s_add_i32 s40, s2, -1
	s_sub_i32 s2, 0, s0
	s_lshl_b32 s9, s9, 2
	s_mul_i32 s2, s2, s1
	s_add_i32 s41, s9, 0
	s_mul_i32 s9, s8, s12
	s_mul_hi_u32 s2, s1, s2
	s_sub_i32 s9, s6, s9
	s_add_i32 s1, s1, s2
	s_add_i32 s10, s8, 1
	s_sub_i32 s11, s9, s12
	s_cmp_ge_u32 s9, s12
	s_cselect_b32 s8, s10, s8
	s_cselect_b32 s9, s11, s9
	s_add_i32 s10, s8, 1
	s_cmp_ge_u32 s9, s12
	s_cselect_b32 s8, s10, s8
	s_load_dwordx2 s[2:3], s[4:5], 0x0
	s_load_dwordx4 s[36:39], s[4:5], 0x58
	s_mul_i32 s9, s8, s12
	s_mul_i32 s8, s8, s34
	s_sub_i32 s6, s6, s9
	v_add_u32_e32 v2, s8, v0
	s_mul_i32 s8, s16, s13
	s_mul_i32 s8, s8, s17
	;; [unrolled: 1-line block ×4, first 2 shown]
	s_ashr_i32 s11, s10, 31
	s_mul_hi_u32 s1, s40, s1
	s_ashr_i32 s9, s8, 31
	s_lshl_b64 s[10:11], s[10:11], 3
	s_waitcnt lgkmcnt(0)
	s_add_u32 s12, s2, s10
	s_mul_i32 s2, s1, s0
	s_addc_u32 s57, s3, s11
	s_sub_i32 s2, s40, s2
	s_add_i32 s3, s1, 1
	s_sub_i32 s4, s2, s0
	s_cmp_ge_u32 s2, s0
	s_cselect_b32 s1, s3, s1
	s_cselect_b32 s2, s4, s2
	s_add_i32 s3, s1, 1
	s_cmp_ge_u32 s2, s0
	s_cselect_b32 s0, s3, s1
	s_mul_i32 s1, s0, s7
	v_add_u32_e32 v1, s1, v1
	v_add_u32_e32 v4, s0, v1
	s_add_i32 s0, s18, -1
	s_add_i32 s2, s19, -1
	s_mul_i32 s58, s24, s0
	s_mul_i32 s59, s25, s2
	s_add_i32 s58, s58, 1
	s_add_i32 s59, s59, 1
	s_max_i32 s2, s18, s19
	s_cmp_lt_i32 s2, 4
	s_mul_i32 s16, s30, s34
	s_cselect_b64 s[2:3], -1, 0
	s_cmp_le_u32 s13, s16
	s_cselect_b64 s[4:5], -1, 0
	s_max_u32 s60, s24, 1
	v_min_i32_e32 v34, s17, v4
	v_mul_lo_u32 v4, v2, s27
	v_cvt_f32_u32_e32 v10, s60
	v_mul_lo_u32 v3, s35, v6
	s_and_b64 s[18:19], s[2:3], s[4:5]
	v_ashrrev_i32_e32 v5, 31, v4
	v_rcp_iflag_f32_e32 v10, v10
	v_lshlrev_b64 v[7:8], 3, v[4:5]
	v_mov_b32_e32 v5, s57
	v_add_co_u32_e32 v35, vcc, s12, v7
	v_addc_co_u32_e32 v36, vcc, v5, v8, vcc
	v_mul_f32_e32 v5, 0x4f7ffffe, v10
	v_cvt_u32_f32_e32 v5, v5
	s_sub_i32 s4, 0, s60
	v_lshlrev_b32_e32 v9, 3, v3
	v_lshlrev_b32_e32 v7, 3, v0
	v_mul_lo_u32 v8, s4, v5
	v_add3_u32 v37, s41, v9, v7
	s_mul_i32 s4, s56, s33
	v_lshlrev_b32_e32 v9, 3, v6
	v_lshl_add_u32 v9, s4, 2, v9
	v_mul_lo_u32 v9, s31, v9
	v_mul_hi_u32 v8, v5, v8
	v_lshlrev_b32_e32 v3, 2, v3
	v_lshlrev_b32_e32 v10, 2, v0
	v_add3_u32 v0, 0, v3, v10
	v_mul_lo_u32 v3, v9, s34
	v_add_u32_e32 v38, v5, v8
	v_mul_lo_u32 v5, s31, v6
	s_lshl_b64 s[4:5], s[8:9], 3
	v_add3_u32 v39, v3, v7, 0
	v_ashrrev_i32_e32 v3, 31, v2
	v_mul_lo_u32 v7, v5, s34
	v_lshlrev_b64 v[5:6], 3, v[2:3]
	v_mov_b32_e32 v8, s5
	v_add_co_u32_e32 v3, vcc, s4, v5
	v_addc_co_u32_e32 v40, vcc, v8, v6, vcc
	v_mad_u64_u32 v[5:6], s[4:5], s17, v32, v[1:2]
	v_lshlrev_b32_e32 v6, 2, v7
	s_mul_i32 s65, s17, s13
	v_mul_lo_u32 v42, s13, v5
	s_ashr_i32 s17, s16, 31
	v_cmp_lt_i32_e64 s[0:1], v1, v34
	v_cmp_gt_i32_e64 s[2:3], s13, v2
	s_lshl_b32 s61, s25, 1
	s_mul_i32 s62, s16, s27
	s_lshl_b32 s63, s34, 3
	v_add3_u32 v41, v6, v10, 0
	s_lshl_b32 s64, s34, 2
	s_mul_i32 s65, s65, s33
	s_mul_i32 s66, s13, s56
	s_lshl_b64 s[26:27], s[16:17], 3
	s_mov_b64 s[30:31], 0
	v_mov_b32_e32 v5, 0
	v_mov_b32_e32 v6, 0xfff00000
	s_branch .LBB0_6
.LBB0_5:                                ;   in Loop: Header=BB0_6 Depth=1
	s_or_b64 exec, exec, s[34:35]
	v_add_u32_e32 v32, s33, v32
	v_cmp_ge_i32_e32 vcc, v32, v33
	s_or_b64 s[30:31], vcc, s[30:31]
	v_add_u32_e32 v42, s65, v42
	s_andn2_b64 exec, exec, s[30:31]
	s_cbranch_execz .LBB0_74
.LBB0_6:                                ; =>This Loop Header: Depth=1
                                        ;     Child Loop BB0_9 Depth 2
                                        ;       Child Loop BB0_10 Depth 3
                                        ;       Child Loop BB0_63 Depth 3
                                        ;         Child Loop BB0_66 Depth 4
                                        ;           Child Loop BB0_69 Depth 5
                                        ;       Child Loop BB0_73 Depth 3
	s_and_saveexec_b64 s[34:35], s[0:1]
	s_cbranch_execz .LBB0_5
; %bb.7:                                ;   in Loop: Header=BB0_6 Depth=1
	v_mul_lo_u32 v8, v32, s20
	s_mov_b64 s[40:41], 0
	v_mov_b32_e32 v7, v42
	v_mov_b32_e32 v44, v1
	v_subrev_u32_e32 v9, s22, v8
	v_add_u32_e32 v8, s58, v9
	v_min_i32_e32 v43, s14, v8
	s_branch .LBB0_9
.LBB0_8:                                ;   in Loop: Header=BB0_9 Depth=2
	s_or_b64 exec, exec, s[8:9]
	v_add_u32_e32 v44, s56, v44
	v_cmp_ge_i32_e32 vcc, v44, v34
	s_or_b64 s[40:41], vcc, s[40:41]
	v_add_u32_e32 v7, s66, v7
	s_andn2_b64 exec, exec, s[40:41]
	s_cbranch_execz .LBB0_5
.LBB0_9:                                ;   Parent Loop BB0_6 Depth=1
                                        ; =>  This Loop Header: Depth=2
                                        ;       Child Loop BB0_10 Depth 3
                                        ;       Child Loop BB0_63 Depth 3
                                        ;         Child Loop BB0_66 Depth 4
                                        ;           Child Loop BB0_69 Depth 5
                                        ;       Child Loop BB0_73 Depth 3
	v_mul_lo_u32 v8, v44, s21
	s_mov_b64 s[4:5], 0
	v_subrev_u32_e32 v10, s23, v8
	v_mov_b32_e32 v46, v10
.LBB0_10:                               ;   Parent Loop BB0_6 Depth=1
                                        ;     Parent Loop BB0_9 Depth=2
                                        ; =>    This Inner Loop Header: Depth=3
	v_mov_b32_e32 v8, v46
	v_cmp_lt_i32_e32 vcc, -1, v8
	s_or_b64 s[4:5], vcc, s[4:5]
	v_add_u32_e32 v46, s25, v8
	s_andn2_b64 exec, exec, s[4:5]
	s_cbranch_execnz .LBB0_10
; %bb.11:                               ;   in Loop: Header=BB0_9 Depth=2
	s_or_b64 exec, exec, s[4:5]
	v_lshrrev_b32_e32 v12, 31, v9
	v_max_i32_e32 v11, 0, v9
	v_add_u32_e32 v13, v9, v12
	v_sub_u32_e32 v11, v11, v13
	v_mul_hi_u32 v13, v11, v38
	v_add_u32_e32 v15, s59, v10
	v_min_i32_e32 v45, s15, v15
	v_mul_lo_u32 v14, v13, s60
	v_add_u32_e32 v10, 1, v13
	v_sub_u32_e32 v11, v11, v14
	v_cmp_le_u32_e32 vcc, s60, v11
	v_cndmask_b32_e32 v10, v13, v10, vcc
	v_subrev_u32_e32 v13, s60, v11
	v_cndmask_b32_e32 v11, v11, v13, vcc
	v_add_u32_e32 v13, 1, v10
	v_cmp_le_u32_e32 vcc, s60, v11
	v_cndmask_b32_e32 v10, v10, v13, vcc
	v_add_u32_e32 v10, v12, v10
	v_mad_u64_u32 v[9:10], s[4:5], s24, v10, v[9:10]
	s_mov_b64 s[4:5], -1
	s_and_b64 vcc, exec, s[18:19]
	v_cmp_lt_i32_e64 s[8:9], v9, v43
	s_cbranch_vccnz .LBB0_14
; %bb.12:                               ;   in Loop: Header=BB0_9 Depth=2
	s_and_b64 vcc, exec, s[4:5]
	s_cbranch_vccnz .LBB0_60
.LBB0_13:                               ;   in Loop: Header=BB0_9 Depth=2
	s_and_saveexec_b64 s[8:9], s[2:3]
	s_cbranch_execz .LBB0_8
	s_branch .LBB0_72
.LBB0_14:                               ;   in Loop: Header=BB0_9 Depth=2
	v_mul_lo_u32 v10, v9, s28
	v_mul_lo_u32 v26, v8, s29
	v_cmp_lt_i32_e32 vcc, v8, v45
	v_mov_b32_e32 v14, 0
	v_ashrrev_i32_e32 v11, 31, v10
	v_lshlrev_b64 v[10:11], 3, v[10:11]
	v_mov_b32_e32 v15, 0
	v_add_co_u32_e64 v16, s[4:5], v35, v10
	v_addc_co_u32_e64 v17, s[4:5], v36, v11, s[4:5]
	s_and_b64 s[4:5], s[8:9], vcc
	v_mov_b32_e32 v10, 0
	s_and_b64 s[42:43], s[2:3], s[4:5]
	v_mov_b32_e32 v11, 0
	v_ashrrev_i32_e32 v27, 31, v26
	s_and_saveexec_b64 s[6:7], s[42:43]
	s_cbranch_execz .LBB0_16
; %bb.15:                               ;   in Loop: Header=BB0_9 Depth=2
	v_lshlrev_b64 v[12:13], 3, v[26:27]
	v_add_co_u32_e64 v12, s[4:5], v16, v12
	v_addc_co_u32_e64 v13, s[4:5], v17, v13, s[4:5]
	global_load_dwordx2 v[14:15], v[12:13], off
.LBB0_16:                               ;   in Loop: Header=BB0_9 Depth=2
	s_or_b64 exec, exec, s[6:7]
	v_mul_lo_u32 v28, v46, s29
	v_cmp_lt_i32_e64 s[4:5], v46, v45
	s_and_b64 s[6:7], s[8:9], s[4:5]
	s_and_b64 s[44:45], s[2:3], s[6:7]
	v_ashrrev_i32_e32 v29, 31, v28
	s_and_saveexec_b64 s[10:11], s[44:45]
	s_cbranch_execz .LBB0_18
; %bb.17:                               ;   in Loop: Header=BB0_9 Depth=2
	v_lshlrev_b64 v[10:11], 3, v[28:29]
	v_add_co_u32_e64 v10, s[6:7], v16, v10
	v_addc_co_u32_e64 v11, s[6:7], v17, v11, s[6:7]
	global_load_dwordx2 v[10:11], v[10:11], off
.LBB0_18:                               ;   in Loop: Header=BB0_9 Depth=2
	s_or_b64 exec, exec, s[10:11]
	v_add_u32_e32 v47, s61, v8
	v_mul_lo_u32 v30, v47, s29
	v_cmp_lt_i32_e64 s[6:7], v47, v45
	s_and_b64 s[8:9], s[8:9], s[6:7]
	v_mov_b32_e32 v12, 0
	v_mov_b32_e32 v18, 0
	s_and_b64 s[46:47], s[2:3], s[8:9]
	v_mov_b32_e32 v13, 0
	v_mov_b32_e32 v19, 0
	v_ashrrev_i32_e32 v31, 31, v30
	s_and_saveexec_b64 s[10:11], s[46:47]
	s_cbranch_execz .LBB0_20
; %bb.19:                               ;   in Loop: Header=BB0_9 Depth=2
	v_lshlrev_b64 v[18:19], 3, v[30:31]
	v_add_co_u32_e64 v16, s[8:9], v16, v18
	v_addc_co_u32_e64 v17, s[8:9], v17, v19, s[8:9]
	global_load_dwordx2 v[18:19], v[16:17], off
.LBB0_20:                               ;   in Loop: Header=BB0_9 Depth=2
	s_or_b64 exec, exec, s[10:11]
	v_add_u32_e32 v48, s24, v9
	v_mul_lo_u32 v16, v48, s28
	v_cmp_lt_i32_e64 s[8:9], v48, v43
	v_ashrrev_i32_e32 v17, 31, v16
	v_lshlrev_b64 v[16:17], 3, v[16:17]
	v_add_co_u32_e64 v20, s[10:11], v35, v16
	v_addc_co_u32_e64 v21, s[10:11], v36, v17, s[10:11]
	s_and_b64 s[10:11], s[8:9], vcc
	s_and_b64 s[48:49], s[2:3], s[10:11]
	s_and_saveexec_b64 s[50:51], s[48:49]
	s_cbranch_execz .LBB0_22
; %bb.21:                               ;   in Loop: Header=BB0_9 Depth=2
	v_lshlrev_b64 v[12:13], 3, v[26:27]
	v_add_co_u32_e64 v12, s[10:11], v20, v12
	v_addc_co_u32_e64 v13, s[10:11], v21, v13, s[10:11]
	global_load_dwordx2 v[12:13], v[12:13], off
.LBB0_22:                               ;   in Loop: Header=BB0_9 Depth=2
	s_or_b64 exec, exec, s[50:51]
	s_and_b64 s[10:11], s[8:9], s[4:5]
	v_mov_b32_e32 v16, 0
	v_mov_b32_e32 v22, 0
	;; [unrolled: 1-line block ×4, first 2 shown]
	s_and_b64 s[52:53], s[2:3], s[10:11]
	s_and_saveexec_b64 s[50:51], s[52:53]
	s_cbranch_execz .LBB0_24
; %bb.23:                               ;   in Loop: Header=BB0_9 Depth=2
	v_lshlrev_b64 v[22:23], 3, v[28:29]
	v_add_co_u32_e64 v22, s[10:11], v20, v22
	v_addc_co_u32_e64 v23, s[10:11], v21, v23, s[10:11]
	global_load_dwordx2 v[22:23], v[22:23], off
.LBB0_24:                               ;   in Loop: Header=BB0_9 Depth=2
	s_or_b64 exec, exec, s[50:51]
	s_and_b64 s[8:9], s[8:9], s[6:7]
	s_and_b64 s[50:51], s[2:3], s[8:9]
	s_and_saveexec_b64 s[10:11], s[50:51]
	s_cbranch_execz .LBB0_26
; %bb.25:                               ;   in Loop: Header=BB0_9 Depth=2
	v_lshlrev_b64 v[16:17], 3, v[30:31]
	v_add_co_u32_e64 v16, s[8:9], v20, v16
	v_addc_co_u32_e64 v17, s[8:9], v21, v17, s[8:9]
	global_load_dwordx2 v[16:17], v[16:17], off
.LBB0_26:                               ;   in Loop: Header=BB0_9 Depth=2
	s_or_b64 exec, exec, s[10:11]
	v_add_u32_e32 v49, s24, v48
	v_mul_lo_u32 v20, v49, s28
	v_cmp_lt_i32_e64 s[8:9], v49, v43
	v_mov_b32_e32 v24, 0
	v_mov_b32_e32 v25, 0
	v_ashrrev_i32_e32 v21, 31, v20
	v_lshlrev_b64 v[20:21], 3, v[20:21]
	v_add_co_u32_e64 v50, s[10:11], v35, v20
	v_addc_co_u32_e64 v51, s[10:11], v36, v21, s[10:11]
	s_and_b64 s[10:11], s[8:9], vcc
	v_mov_b32_e32 v20, 0
	v_mov_b32_e32 v21, 0
	s_and_b64 s[54:55], s[2:3], s[10:11]
	s_and_saveexec_b64 s[10:11], s[54:55]
	s_cbranch_execz .LBB0_28
; %bb.27:                               ;   in Loop: Header=BB0_9 Depth=2
	v_lshlrev_b64 v[24:25], 3, v[26:27]
	v_add_co_u32_e32 v24, vcc, v50, v24
	v_addc_co_u32_e32 v25, vcc, v51, v25, vcc
	global_load_dwordx2 v[24:25], v[24:25], off
.LBB0_28:                               ;   in Loop: Header=BB0_9 Depth=2
	s_or_b64 exec, exec, s[10:11]
	s_and_b64 s[4:5], s[8:9], s[4:5]
	s_and_b64 s[10:11], s[2:3], s[4:5]
	s_and_saveexec_b64 s[4:5], s[10:11]
	s_cbranch_execz .LBB0_30
; %bb.29:                               ;   in Loop: Header=BB0_9 Depth=2
	v_lshlrev_b64 v[20:21], 3, v[28:29]
	v_add_co_u32_e32 v20, vcc, v50, v20
	v_addc_co_u32_e32 v21, vcc, v51, v21, vcc
	global_load_dwordx2 v[20:21], v[20:21], off
.LBB0_30:                               ;   in Loop: Header=BB0_9 Depth=2
	s_or_b64 exec, exec, s[4:5]
	s_and_b64 s[4:5], s[8:9], s[6:7]
	v_mov_b32_e32 v26, 0
	v_mov_b32_e32 v27, 0
	s_and_b64 s[6:7], s[2:3], s[4:5]
	s_and_saveexec_b64 s[4:5], s[6:7]
	s_cbranch_execz .LBB0_32
; %bb.31:                               ;   in Loop: Header=BB0_9 Depth=2
	v_lshlrev_b64 v[26:27], 3, v[30:31]
	v_add_co_u32_e32 v26, vcc, v50, v26
	v_addc_co_u32_e32 v27, vcc, v51, v27, vcc
	global_load_dwordx2 v[26:27], v[26:27], off
.LBB0_32:                               ;   in Loop: Header=BB0_9 Depth=2
	s_or_b64 exec, exec, s[4:5]
	v_mul_lo_u32 v28, v9, s15
	s_and_saveexec_b64 s[8:9], s[42:43]
	s_cbranch_execz .LBB0_35
; %bb.33:                               ;   in Loop: Header=BB0_9 Depth=2
	ds_read_b64 v[29:30], v37
	s_waitcnt vmcnt(0)
	v_cmp_u_f64_e64 s[4:5], v[14:15], v[14:15]
	s_waitcnt lgkmcnt(0)
	v_cmp_gt_f64_e32 vcc, v[14:15], v[29:30]
	s_or_b64 s[4:5], s[4:5], vcc
	s_and_b64 exec, exec, s[4:5]
	s_cbranch_execz .LBB0_35
; %bb.34:                               ;   in Loop: Header=BB0_9 Depth=2
	v_add_u32_e32 v29, v8, v28
	ds_write_b64 v37, v[14:15]
	ds_write_b32 v0, v29
.LBB0_35:                               ;   in Loop: Header=BB0_9 Depth=2
	s_or_b64 exec, exec, s[8:9]
	s_and_saveexec_b64 s[8:9], s[44:45]
	s_cbranch_execz .LBB0_38
; %bb.36:                               ;   in Loop: Header=BB0_9 Depth=2
	s_waitcnt vmcnt(0)
	ds_read_b64 v[14:15], v37
	v_cmp_u_f64_e64 s[4:5], v[10:11], v[10:11]
	s_waitcnt lgkmcnt(0)
	v_cmp_gt_f64_e32 vcc, v[10:11], v[14:15]
	s_or_b64 s[4:5], s[4:5], vcc
	s_and_b64 exec, exec, s[4:5]
	s_cbranch_execz .LBB0_38
; %bb.37:                               ;   in Loop: Header=BB0_9 Depth=2
	v_add_u32_e32 v14, v46, v28
	ds_write_b64 v37, v[10:11]
	ds_write_b32 v0, v14
.LBB0_38:                               ;   in Loop: Header=BB0_9 Depth=2
	s_or_b64 exec, exec, s[8:9]
	s_and_saveexec_b64 s[8:9], s[46:47]
	s_cbranch_execz .LBB0_41
; %bb.39:                               ;   in Loop: Header=BB0_9 Depth=2
	s_waitcnt vmcnt(0)
	ds_read_b64 v[10:11], v37
	v_cmp_u_f64_e64 s[4:5], v[18:19], v[18:19]
	s_waitcnt lgkmcnt(0)
	v_cmp_gt_f64_e32 vcc, v[18:19], v[10:11]
	s_or_b64 s[4:5], s[4:5], vcc
	s_and_b64 exec, exec, s[4:5]
	s_cbranch_execz .LBB0_41
; %bb.40:                               ;   in Loop: Header=BB0_9 Depth=2
	v_add_u32_e32 v10, v47, v28
	ds_write_b64 v37, v[18:19]
	ds_write_b32 v0, v10
.LBB0_41:                               ;   in Loop: Header=BB0_9 Depth=2
	s_or_b64 exec, exec, s[8:9]
	s_waitcnt vmcnt(0)
	v_mul_lo_u32 v10, v48, s15
	s_and_saveexec_b64 s[8:9], s[48:49]
	s_cbranch_execz .LBB0_44
; %bb.42:                               ;   in Loop: Header=BB0_9 Depth=2
	ds_read_b64 v[14:15], v37
	v_cmp_u_f64_e64 s[4:5], v[12:13], v[12:13]
	s_waitcnt lgkmcnt(0)
	v_cmp_gt_f64_e32 vcc, v[12:13], v[14:15]
	s_or_b64 s[4:5], s[4:5], vcc
	s_and_b64 exec, exec, s[4:5]
	s_cbranch_execz .LBB0_44
; %bb.43:                               ;   in Loop: Header=BB0_9 Depth=2
	v_add_u32_e32 v11, v8, v10
	ds_write_b64 v37, v[12:13]
	ds_write_b32 v0, v11
.LBB0_44:                               ;   in Loop: Header=BB0_9 Depth=2
	s_or_b64 exec, exec, s[8:9]
	s_and_saveexec_b64 s[8:9], s[52:53]
	s_cbranch_execz .LBB0_47
; %bb.45:                               ;   in Loop: Header=BB0_9 Depth=2
	ds_read_b64 v[11:12], v37
	v_cmp_u_f64_e64 s[4:5], v[22:23], v[22:23]
	s_waitcnt lgkmcnt(0)
	v_cmp_gt_f64_e32 vcc, v[22:23], v[11:12]
	s_or_b64 s[4:5], s[4:5], vcc
	s_and_b64 exec, exec, s[4:5]
	s_cbranch_execz .LBB0_47
; %bb.46:                               ;   in Loop: Header=BB0_9 Depth=2
	v_add_u32_e32 v11, v46, v10
	ds_write_b64 v37, v[22:23]
	ds_write_b32 v0, v11
.LBB0_47:                               ;   in Loop: Header=BB0_9 Depth=2
	s_or_b64 exec, exec, s[8:9]
	;; [unrolled: 16-line block ×3, first 2 shown]
	v_mul_lo_u32 v10, v49, s15
	s_and_saveexec_b64 s[8:9], s[54:55]
	s_cbranch_execz .LBB0_53
; %bb.51:                               ;   in Loop: Header=BB0_9 Depth=2
	ds_read_b64 v[11:12], v37
	v_cmp_u_f64_e64 s[4:5], v[24:25], v[24:25]
	s_waitcnt lgkmcnt(0)
	v_cmp_gt_f64_e32 vcc, v[24:25], v[11:12]
	s_or_b64 s[4:5], s[4:5], vcc
	s_and_b64 exec, exec, s[4:5]
	s_cbranch_execz .LBB0_53
; %bb.52:                               ;   in Loop: Header=BB0_9 Depth=2
	v_add_u32_e32 v11, v8, v10
	ds_write_b64 v37, v[24:25]
	ds_write_b32 v0, v11
.LBB0_53:                               ;   in Loop: Header=BB0_9 Depth=2
	s_or_b64 exec, exec, s[8:9]
	s_and_saveexec_b64 s[8:9], s[10:11]
	s_cbranch_execz .LBB0_56
; %bb.54:                               ;   in Loop: Header=BB0_9 Depth=2
	ds_read_b64 v[11:12], v37
	v_cmp_u_f64_e64 s[4:5], v[20:21], v[20:21]
	s_waitcnt lgkmcnt(0)
	v_cmp_gt_f64_e32 vcc, v[20:21], v[11:12]
	s_or_b64 s[4:5], s[4:5], vcc
	s_and_b64 exec, exec, s[4:5]
	s_cbranch_execz .LBB0_56
; %bb.55:                               ;   in Loop: Header=BB0_9 Depth=2
	v_add_u32_e32 v11, v46, v10
	ds_write_b64 v37, v[20:21]
	ds_write_b32 v0, v11
.LBB0_56:                               ;   in Loop: Header=BB0_9 Depth=2
	s_or_b64 exec, exec, s[8:9]
	;; [unrolled: 16-line block ×3, first 2 shown]
	s_branch .LBB0_13
.LBB0_60:                               ;   in Loop: Header=BB0_9 Depth=2
	v_cmp_lt_i32_e32 vcc, v9, v43
	s_and_saveexec_b64 s[8:9], vcc
	s_cbranch_execz .LBB0_71
; %bb.61:                               ;   in Loop: Header=BB0_9 Depth=2
	v_cmp_lt_i32_e32 vcc, v8, v45
	s_mov_b64 s[10:11], 0
	v_mov_b32_e32 v13, v9
	s_branch .LBB0_63
.LBB0_62:                               ;   in Loop: Header=BB0_63 Depth=3
	s_or_b64 exec, exec, s[42:43]
	v_add_u32_e32 v13, s24, v13
	v_cmp_ge_i32_e64 s[4:5], v13, v43
	s_or_b64 s[10:11], s[4:5], s[10:11]
	s_andn2_b64 exec, exec, s[10:11]
	s_cbranch_execz .LBB0_71
.LBB0_63:                               ;   Parent Loop BB0_6 Depth=1
                                        ;     Parent Loop BB0_9 Depth=2
                                        ; =>    This Loop Header: Depth=3
                                        ;         Child Loop BB0_66 Depth 4
                                        ;           Child Loop BB0_69 Depth 5
	s_and_saveexec_b64 s[42:43], vcc
	s_cbranch_execz .LBB0_62
; %bb.64:                               ;   in Loop: Header=BB0_63 Depth=3
	v_mul_lo_u32 v10, v13, s28
	v_mul_lo_u32 v14, v13, s15
	v_mov_b32_e32 v12, s57
	s_mov_b64 s[44:45], 0
	v_ashrrev_i32_e32 v11, 31, v10
	v_lshlrev_b64 v[10:11], 3, v[10:11]
	v_mov_b32_e32 v17, v8
	v_add_co_u32_e64 v15, s[4:5], s12, v10
	v_addc_co_u32_e64 v16, s[4:5], v12, v11, s[4:5]
	s_branch .LBB0_66
.LBB0_65:                               ;   in Loop: Header=BB0_66 Depth=4
	s_or_b64 exec, exec, s[46:47]
	v_add_u32_e32 v17, s25, v17
	v_cmp_ge_i32_e64 s[4:5], v17, v45
	s_or_b64 s[44:45], s[4:5], s[44:45]
	s_andn2_b64 exec, exec, s[44:45]
	s_cbranch_execz .LBB0_62
.LBB0_66:                               ;   Parent Loop BB0_6 Depth=1
                                        ;     Parent Loop BB0_9 Depth=2
                                        ;       Parent Loop BB0_63 Depth=3
                                        ; =>      This Loop Header: Depth=4
                                        ;           Child Loop BB0_69 Depth 5
	s_and_saveexec_b64 s[46:47], s[2:3]
	s_cbranch_execz .LBB0_65
; %bb.67:                               ;   in Loop: Header=BB0_66 Depth=4
	v_mul_lo_u32 v10, v17, s29
	v_add_u32_e32 v18, v17, v14
	s_mov_b64 s[48:49], 0
	v_mov_b32_e32 v21, v41
	v_ashrrev_i32_e32 v11, 31, v10
	v_lshlrev_b64 v[10:11], 3, v[10:11]
	v_mov_b32_e32 v22, v39
	v_add_co_u32_e64 v19, s[4:5], v15, v10
	v_addc_co_u32_e64 v20, s[4:5], v16, v11, s[4:5]
	v_mov_b32_e32 v10, v4
	v_mov_b32_e32 v23, v2
	s_branch .LBB0_69
.LBB0_68:                               ;   in Loop: Header=BB0_69 Depth=5
	s_or_b64 exec, exec, s[4:5]
	v_add_u32_e32 v23, s16, v23
	v_cmp_le_i32_e64 s[4:5], s13, v23
	v_add_u32_e32 v10, s62, v10
	v_add_u32_e32 v22, s63, v22
	s_or_b64 s[48:49], s[4:5], s[48:49]
	v_add_u32_e32 v21, s64, v21
	s_andn2_b64 exec, exec, s[48:49]
	s_cbranch_execz .LBB0_65
.LBB0_69:                               ;   Parent Loop BB0_6 Depth=1
                                        ;     Parent Loop BB0_9 Depth=2
                                        ;       Parent Loop BB0_63 Depth=3
                                        ;         Parent Loop BB0_66 Depth=4
                                        ; =>        This Inner Loop Header: Depth=5
	v_ashrrev_i32_e32 v11, 31, v10
	v_lshlrev_b64 v[11:12], 3, v[10:11]
	ds_read_b64 v[24:25], v22
	v_add_co_u32_e64 v11, s[4:5], v19, v11
	v_addc_co_u32_e64 v12, s[4:5], v20, v12, s[4:5]
	global_load_dwordx2 v[11:12], v[11:12], off
	s_waitcnt vmcnt(0) lgkmcnt(0)
	v_cmp_gt_f64_e64 s[4:5], v[11:12], v[24:25]
	v_cmp_u_f64_e64 s[6:7], v[11:12], v[11:12]
	s_or_b64 s[6:7], s[6:7], s[4:5]
	s_and_saveexec_b64 s[4:5], s[6:7]
	s_cbranch_execz .LBB0_68
; %bb.70:                               ;   in Loop: Header=BB0_69 Depth=5
	ds_write_b64 v22, v[11:12]
	ds_write_b32 v21, v18
	s_branch .LBB0_68
.LBB0_71:                               ;   in Loop: Header=BB0_9 Depth=2
	s_or_b64 exec, exec, s[8:9]
	s_and_saveexec_b64 s[8:9], s[2:3]
	s_cbranch_execz .LBB0_8
.LBB0_72:                               ;   in Loop: Header=BB0_9 Depth=2
	v_ashrrev_i32_e32 v8, 31, v7
	v_lshlrev_b64 v[10:11], 3, v[7:8]
	s_mov_b64 s[10:11], 0
	v_add_co_u32_e32 v8, vcc, v3, v10
	v_addc_co_u32_e32 v10, vcc, v40, v11, vcc
	v_mov_b32_e32 v11, v41
	v_mov_b32_e32 v12, v39
	;; [unrolled: 1-line block ×3, first 2 shown]
.LBB0_73:                               ;   Parent Loop BB0_6 Depth=1
                                        ;     Parent Loop BB0_9 Depth=2
                                        ; =>    This Inner Loop Header: Depth=3
	ds_read_b32 v18, v11
	ds_read_b64 v[14:15], v12
	v_mov_b32_e32 v17, s37
	v_add_co_u32_e32 v16, vcc, s36, v8
	v_mov_b32_e32 v19, s39
	v_add_co_u32_e64 v20, s[4:5], s38, v8
	v_mov_b32_e32 v22, s27
	v_add_co_u32_e64 v8, s[6:7], s26, v8
	v_add_u32_e32 v13, s16, v13
	v_addc_co_u32_e32 v17, vcc, v17, v10, vcc
	v_addc_co_u32_e64 v21, vcc, v19, v10, s[4:5]
	v_addc_co_u32_e64 v10, vcc, v10, v22, s[6:7]
	v_cmp_le_i32_e32 vcc, s13, v13
	ds_write_b64 v12, v[5:6]
	ds_write_b32 v11, v5
	v_add_u32_e32 v12, s63, v12
	v_add_u32_e32 v11, s64, v11
	s_or_b64 s[10:11], vcc, s[10:11]
	s_waitcnt lgkmcnt(3)
	v_ashrrev_i32_e32 v19, 31, v18
	s_waitcnt lgkmcnt(2)
	global_store_dwordx2 v[16:17], v[14:15], off
	global_store_dwordx2 v[20:21], v[18:19], off
	s_andn2_b64 exec, exec, s[10:11]
	s_cbranch_execnz .LBB0_73
	s_branch .LBB0_8
.LBB0_74:
	s_endpgm
	.section	.rodata,"a",@progbits
	.p2align	6, 0x0
	.amdhsa_kernel _ZN2at6native12_GLOBAL__N_121max_pool_forward_nhwcIdiEEvPKT_iT0_S6_S6_S6_S6_iiiiiiiiS6_S6_S6_S6_iiPS3_Pl
		.amdhsa_group_segment_fixed_size 0
		.amdhsa_private_segment_fixed_size 0
		.amdhsa_kernarg_size 360
		.amdhsa_user_sgpr_count 6
		.amdhsa_user_sgpr_private_segment_buffer 1
		.amdhsa_user_sgpr_dispatch_ptr 0
		.amdhsa_user_sgpr_queue_ptr 0
		.amdhsa_user_sgpr_kernarg_segment_ptr 1
		.amdhsa_user_sgpr_dispatch_id 0
		.amdhsa_user_sgpr_flat_scratch_init 0
		.amdhsa_user_sgpr_private_segment_size 0
		.amdhsa_uses_dynamic_stack 0
		.amdhsa_system_sgpr_private_segment_wavefront_offset 0
		.amdhsa_system_sgpr_workgroup_id_x 1
		.amdhsa_system_sgpr_workgroup_id_y 1
		.amdhsa_system_sgpr_workgroup_id_z 1
		.amdhsa_system_sgpr_workgroup_info 0
		.amdhsa_system_vgpr_workitem_id 2
		.amdhsa_next_free_vgpr 52
		.amdhsa_next_free_sgpr 67
		.amdhsa_reserve_vcc 1
		.amdhsa_reserve_flat_scratch 0
		.amdhsa_float_round_mode_32 0
		.amdhsa_float_round_mode_16_64 0
		.amdhsa_float_denorm_mode_32 3
		.amdhsa_float_denorm_mode_16_64 3
		.amdhsa_dx10_clamp 1
		.amdhsa_ieee_mode 1
		.amdhsa_fp16_overflow 0
		.amdhsa_exception_fp_ieee_invalid_op 0
		.amdhsa_exception_fp_denorm_src 0
		.amdhsa_exception_fp_ieee_div_zero 0
		.amdhsa_exception_fp_ieee_overflow 0
		.amdhsa_exception_fp_ieee_underflow 0
		.amdhsa_exception_fp_ieee_inexact 0
		.amdhsa_exception_int_div_zero 0
	.end_amdhsa_kernel
	.section	.text._ZN2at6native12_GLOBAL__N_121max_pool_forward_nhwcIdiEEvPKT_iT0_S6_S6_S6_S6_iiiiiiiiS6_S6_S6_S6_iiPS3_Pl,"axG",@progbits,_ZN2at6native12_GLOBAL__N_121max_pool_forward_nhwcIdiEEvPKT_iT0_S6_S6_S6_S6_iiiiiiiiS6_S6_S6_S6_iiPS3_Pl,comdat
.Lfunc_end0:
	.size	_ZN2at6native12_GLOBAL__N_121max_pool_forward_nhwcIdiEEvPKT_iT0_S6_S6_S6_S6_iiiiiiiiS6_S6_S6_S6_iiPS3_Pl, .Lfunc_end0-_ZN2at6native12_GLOBAL__N_121max_pool_forward_nhwcIdiEEvPKT_iT0_S6_S6_S6_S6_iiiiiiiiS6_S6_S6_S6_iiPS3_Pl
                                        ; -- End function
	.set _ZN2at6native12_GLOBAL__N_121max_pool_forward_nhwcIdiEEvPKT_iT0_S6_S6_S6_S6_iiiiiiiiS6_S6_S6_S6_iiPS3_Pl.num_vgpr, 52
	.set _ZN2at6native12_GLOBAL__N_121max_pool_forward_nhwcIdiEEvPKT_iT0_S6_S6_S6_S6_iiiiiiiiS6_S6_S6_S6_iiPS3_Pl.num_agpr, 0
	.set _ZN2at6native12_GLOBAL__N_121max_pool_forward_nhwcIdiEEvPKT_iT0_S6_S6_S6_S6_iiiiiiiiS6_S6_S6_S6_iiPS3_Pl.numbered_sgpr, 67
	.set _ZN2at6native12_GLOBAL__N_121max_pool_forward_nhwcIdiEEvPKT_iT0_S6_S6_S6_S6_iiiiiiiiS6_S6_S6_S6_iiPS3_Pl.num_named_barrier, 0
	.set _ZN2at6native12_GLOBAL__N_121max_pool_forward_nhwcIdiEEvPKT_iT0_S6_S6_S6_S6_iiiiiiiiS6_S6_S6_S6_iiPS3_Pl.private_seg_size, 0
	.set _ZN2at6native12_GLOBAL__N_121max_pool_forward_nhwcIdiEEvPKT_iT0_S6_S6_S6_S6_iiiiiiiiS6_S6_S6_S6_iiPS3_Pl.uses_vcc, 1
	.set _ZN2at6native12_GLOBAL__N_121max_pool_forward_nhwcIdiEEvPKT_iT0_S6_S6_S6_S6_iiiiiiiiS6_S6_S6_S6_iiPS3_Pl.uses_flat_scratch, 0
	.set _ZN2at6native12_GLOBAL__N_121max_pool_forward_nhwcIdiEEvPKT_iT0_S6_S6_S6_S6_iiiiiiiiS6_S6_S6_S6_iiPS3_Pl.has_dyn_sized_stack, 0
	.set _ZN2at6native12_GLOBAL__N_121max_pool_forward_nhwcIdiEEvPKT_iT0_S6_S6_S6_S6_iiiiiiiiS6_S6_S6_S6_iiPS3_Pl.has_recursion, 0
	.set _ZN2at6native12_GLOBAL__N_121max_pool_forward_nhwcIdiEEvPKT_iT0_S6_S6_S6_S6_iiiiiiiiS6_S6_S6_S6_iiPS3_Pl.has_indirect_call, 0
	.section	.AMDGPU.csdata,"",@progbits
; Kernel info:
; codeLenInByte = 3144
; TotalNumSgprs: 71
; NumVgprs: 52
; ScratchSize: 0
; MemoryBound: 0
; FloatMode: 240
; IeeeMode: 1
; LDSByteSize: 0 bytes/workgroup (compile time only)
; SGPRBlocks: 8
; VGPRBlocks: 12
; NumSGPRsForWavesPerEU: 71
; NumVGPRsForWavesPerEU: 52
; Occupancy: 4
; WaveLimiterHint : 1
; COMPUTE_PGM_RSRC2:SCRATCH_EN: 0
; COMPUTE_PGM_RSRC2:USER_SGPR: 6
; COMPUTE_PGM_RSRC2:TRAP_HANDLER: 0
; COMPUTE_PGM_RSRC2:TGID_X_EN: 1
; COMPUTE_PGM_RSRC2:TGID_Y_EN: 1
; COMPUTE_PGM_RSRC2:TGID_Z_EN: 1
; COMPUTE_PGM_RSRC2:TIDIG_COMP_CNT: 2
	.section	.text._ZN2at6native12_GLOBAL__N_121max_pool_forward_nhwcIdlEEvPKT_iT0_S6_S6_S6_S6_iiiiiiiiS6_S6_S6_S6_iiPS3_Pl,"axG",@progbits,_ZN2at6native12_GLOBAL__N_121max_pool_forward_nhwcIdlEEvPKT_iT0_S6_S6_S6_S6_iiiiiiiiS6_S6_S6_S6_iiPS3_Pl,comdat
	.globl	_ZN2at6native12_GLOBAL__N_121max_pool_forward_nhwcIdlEEvPKT_iT0_S6_S6_S6_S6_iiiiiiiiS6_S6_S6_S6_iiPS3_Pl ; -- Begin function _ZN2at6native12_GLOBAL__N_121max_pool_forward_nhwcIdlEEvPKT_iT0_S6_S6_S6_S6_iiiiiiiiS6_S6_S6_S6_iiPS3_Pl
	.p2align	8
	.type	_ZN2at6native12_GLOBAL__N_121max_pool_forward_nhwcIdlEEvPKT_iT0_S6_S6_S6_S6_iiiiiiiiS6_S6_S6_S6_iiPS3_Pl,@function
_ZN2at6native12_GLOBAL__N_121max_pool_forward_nhwcIdlEEvPKT_iT0_S6_S6_S6_S6_iiiiiiiiS6_S6_S6_S6_iiPS3_Pl: ; @_ZN2at6native12_GLOBAL__N_121max_pool_forward_nhwcIdlEEvPKT_iT0_S6_S6_S6_S6_iiiiiiiiS6_S6_S6_S6_iiPS3_Pl
; %bb.0:
	s_load_dwordx4 s[0:3], s[4:5], 0x94
	s_load_dwordx2 s[10:11], s[4:5], 0x78
	s_waitcnt lgkmcnt(0)
	s_lshr_b32 s60, s2, 16
	s_and_b32 s9, s2, 0xffff
	v_mad_u32_u24 v8, v2, s60, v1
	s_and_b32 s33, s3, 0xffff
	v_mad_u64_u32 v[3:4], s[2:3], v8, s9, v[0:1]
	s_mul_i32 s14, s11, s9
	s_mul_i32 s15, s14, s60
	;; [unrolled: 1-line block ×3, first 2 shown]
	v_cmp_gt_u32_e32 vcc, s15, v3
	s_and_saveexec_b64 s[2:3], vcc
	s_cbranch_execz .LBB1_3
; %bb.1:
	s_mul_i32 s16, s60, s9
	s_mul_i32 s16, s16, s33
	v_mov_b32_e32 v4, 0
	s_lshl_b32 s17, s15, 3
	v_lshl_add_u32 v9, v3, 3, 0
	s_lshl_b32 s18, s16, 3
	s_mov_b64 s[12:13], 0
	v_mov_b32_e32 v5, 0xfff00000
	v_mov_b32_e32 v6, v4
	;; [unrolled: 1-line block ×3, first 2 shown]
.LBB1_2:                                ; =>This Inner Loop Header: Depth=1
	v_add_u32_e32 v3, s16, v3
	v_cmp_le_u32_e32 vcc, s15, v3
	v_add_u32_e32 v10, s17, v9
	ds_write_b64 v9, v[6:7]
	v_add_u32_e32 v9, s18, v9
	s_or_b64 s[12:13], vcc, s[12:13]
	ds_write_b64 v10, v[4:5]
	s_andn2_b64 exec, exec, s[12:13]
	s_cbranch_execnz .LBB1_2
.LBB1_3:
	s_or_b64 exec, exec, s[2:3]
	v_cvt_f32_u32_e32 v3, s1
	s_load_dword s2, s[4:5], 0x8
	s_load_dwordx8 s[20:27], s[4:5], 0x10
	s_sub_i32 s3, 0, s1
	s_waitcnt lgkmcnt(0)
	v_rcp_iflag_f32_e32 v3, v3
	v_cvt_f32_u32_e32 v4, s2
	s_add_i32 s12, s26, s1
	s_add_i32 s12, s12, -1
	v_mul_f32_e32 v3, 0x4f7ffffe, v3
	v_cvt_u32_f32_e32 v3, v3
	v_rcp_iflag_f32_e32 v4, v4
	s_barrier
	v_readfirstlane_b32 s13, v3
	s_mul_i32 s16, s3, s13
	s_mul_hi_u32 s16, s13, s16
	s_add_i32 s13, s13, s16
	s_mul_hi_u32 s13, s12, s13
	v_cvt_f32_u32_e32 v3, s0
	s_mul_i32 s16, s13, s1
	s_sub_i32 s12, s12, s16
	s_add_i32 s16, s13, 1
	s_sub_i32 s17, s12, s1
	v_rcp_iflag_f32_e32 v3, v3
	s_cmp_ge_u32 s12, s1
	s_cselect_b32 s13, s16, s13
	s_cselect_b32 s12, s17, s12
	s_add_i32 s16, s13, 1
	s_cmp_ge_u32 s12, s1
	v_mul_f32_e32 v4, 0x4f7ffffe, v4
	v_mul_f32_e32 v3, 0x4f7ffffe, v3
	s_cselect_b32 s12, s16, s13
	v_cvt_u32_f32_e32 v4, v4
	v_cvt_u32_f32_e32 v3, v3
	s_mul_i32 s8, s12, s8
	v_add_u32_e32 v47, s8, v2
	v_add_u32_e32 v2, s12, v47
	v_min_i32_e32 v48, s26, v2
	v_readfirstlane_b32 s3, v4
	v_readfirstlane_b32 s1, v3
	v_cmp_lt_i32_e32 vcc, v47, v48
	s_and_saveexec_b64 s[12:13], vcc
	s_cbranch_execz .LBB1_78
; %bb.4:
	s_sub_i32 s8, 0, s2
	s_load_dwordx2 s[18:19], s[4:5], 0x30
	s_load_dwordx2 s[12:13], s[4:5], 0x0
	s_mul_i32 s8, s8, s3
	s_mul_hi_u32 s8, s3, s8
	s_sub_i32 s16, 0, s0
	s_add_i32 s3, s3, s8
	s_mul_i32 s16, s16, s1
	s_mul_hi_u32 s3, s6, s3
	s_mul_hi_u32 s16, s1, s16
	s_add_i32 s1, s1, s16
	s_mul_i32 s16, s3, s2
	s_waitcnt lgkmcnt(0)
	s_add_i32 s8, s18, s0
	s_lshl_b32 s15, s15, 3
	s_sub_i32 s16, s6, s16
	s_add_i32 s8, s8, -1
	s_add_i32 s15, s15, 0
	s_add_i32 s17, s3, 1
	s_sub_i32 s28, s16, s2
	s_cmp_ge_u32 s16, s2
	s_cselect_b32 s3, s17, s3
	s_cselect_b32 s16, s28, s16
	s_add_i32 s17, s3, 1
	s_load_dwordx8 s[36:43], s[4:5], 0x58
	s_cmp_ge_u32 s16, s2
	s_cselect_b32 s16, s17, s3
	s_mul_i32 s2, s16, s2
	s_sub_i32 s6, s6, s2
	s_ashr_i32 s17, s6, 31
	s_waitcnt lgkmcnt(0)
	s_mul_i32 s2, s36, s17
	s_mul_hi_u32 s3, s36, s6
	s_add_i32 s2, s3, s2
	s_mul_i32 s3, s37, s6
	s_add_i32 s3, s2, s3
	s_mul_i32 s2, s36, s6
	s_mul_hi_u32 s1, s8, s1
	s_lshl_b64 s[2:3], s[2:3], 3
	s_add_u32 s61, s12, s2
	s_mul_i32 s2, s1, s0
	s_addc_u32 s62, s13, s3
	s_sub_i32 s2, s8, s2
	s_add_i32 s3, s1, 1
	s_sub_i32 s8, s2, s0
	s_cmp_ge_u32 s2, s0
	s_cselect_b32 s1, s3, s1
	s_load_dwordx8 s[44:51], s[4:5], 0x38
	s_cselect_b32 s2, s8, s2
	s_add_i32 s3, s1, 1
	s_cmp_ge_u32 s2, s0
	s_cselect_b32 s0, s3, s1
	s_mul_i32 s1, s0, s7
	v_add_u32_e32 v49, s1, v1
	v_add_u32_e32 v1, s0, v49
	s_waitcnt lgkmcnt(0)
	s_add_i32 s0, s44, -1
	s_mul_i32 s0, s50, s0
	s_add_i32 s64, s0, 1
	s_add_i32 s0, s45, -1
	s_mul_i32 s0, s51, s0
	s_mul_i32 s16, s16, s9
	s_add_i32 s67, s0, 1
	s_mul_i32 s36, s10, s9
	v_mov_b32_e32 v3, 0
	v_min_i32_e32 v50, s18, v1
	v_add_u32_e32 v1, s16, v0
	s_ashr_i32 s63, s48, 31
	s_ashr_i32 s65, s64, 31
	;; [unrolled: 1-line block ×6, first 2 shown]
	s_max_i32 s0, s44, s45
	v_mov_b32_e32 v9, s36
	v_mov_b32_e32 v10, v3
	s_cmp_lt_i32 s0, 4
	v_mad_u64_u32 v[5:6], s[0:1], s38, v1, 0
	v_cmp_le_i64_e32 vcc, s[20:21], v[9:10]
	s_mov_b32 s34, s50
	s_cselect_b64 s[0:1], -1, 0
	v_mul_lo_u32 v2, s14, v8
	s_and_b64 s[44:45], s[0:1], vcc
	v_cmp_gt_u64_e64 s[0:1], s[34:35], 1
	s_ashr_i32 s2, s10, 31
	s_and_b64 s[0:1], s[0:1], exec
	s_cselect_b32 s70, s35, 0
	s_cselect_b32 s71, s50, 1
	s_add_u32 s0, s49, s51
	v_lshlrev_b32_e32 v4, 3, v2
	v_ashrrev_i32_e32 v2, 31, v1
	s_addc_u32 s1, s66, s69
	v_mul_lo_u32 v7, s38, v2
	v_mul_lo_u32 v11, s39, v1
	s_sub_u32 s72, 0, s0
	s_subb_u32 s73, 0, s1
	s_mul_i32 s0, s18, s27
	s_mul_hi_u32 s1, s18, s26
	s_add_i32 s0, s1, s0
	s_mul_i32 s1, s19, s26
	s_mul_i32 s3, s18, s26
	s_add_i32 s0, s0, s1
	s_mul_i32 s1, s3, s17
	s_mul_hi_u32 s7, s3, s6
	v_add3_u32 v6, v6, v7, v11
	s_add_i32 s1, s7, s1
	s_mul_i32 s0, s0, s6
	v_lshlrev_b64 v[9:10], 3, v[5:6]
	s_add_i32 s1, s1, s0
	s_mul_i32 s0, s3, s6
	s_mul_hi_u32 s3, s38, s10
	s_mul_i32 s2, s38, s2
	s_add_i32 s2, s3, s2
	s_mul_i32 s3, s39, s10
	v_add_co_u32_e32 v51, vcc, s61, v9
	s_add_i32 s2, s2, s3
	s_mul_i32 s3, s60, s33
	v_lshlrev_b32_e32 v9, 3, v8
	v_lshl_add_u32 v9, s3, 3, v9
	v_mul_lo_u32 v8, s11, v8
	v_mov_b32_e32 v7, s62
	v_mul_lo_u32 v9, s11, v9
	v_addc_co_u32_e32 v52, vcc, v7, v10, vcc
	v_lshlrev_b32_e32 v7, 3, v0
	v_add_u32_e32 v53, 0, v7
	s_load_dwordx4 s[28:31], s[4:5], 0x80
	v_add3_u32 v0, s15, v4, v7
	v_add_u32_e32 v54, v53, v4
	v_mul_lo_u32 v4, v8, s9
	s_mul_i32 s3, s38, s10
	v_mul_lo_u32 v55, v9, s9
	s_mul_i32 s2, s2, s9
	s_mul_hi_u32 s4, s3, s9
	s_mul_hi_i32 s37, s9, s10
	s_add_i32 s76, s4, s2
	s_mul_i32 s78, s3, s9
	v_cmp_le_i64_e64 s[2:3], s[20:21], v[1:2]
	v_cmp_gt_i64_e64 s[4:5], s[20:21], v[1:2]
	s_mov_b32 s74, s48
	s_mov_b32 s75, s49
	;; [unrolled: 1-line block ×3, first 2 shown]
	s_lshl_b32 s79, s9, 3
	v_lshlrev_b32_e32 v56, 3, v4
	s_lshl_b64 s[26:27], s[0:1], 3
	v_mov_b32_e32 v4, 0xfff00000
	v_cmp_lt_i32_e64 s[0:1], v49, v50
	s_mov_b64 s[38:39], 0
	s_lshl_b64 s[48:49], s[36:37], 3
	s_branch .LBB1_6
.LBB1_5:                                ;   in Loop: Header=BB1_6 Depth=1
	s_or_b64 exec, exec, s[52:53]
	v_add_u32_e32 v47, s33, v47
	v_cmp_ge_i32_e32 vcc, v47, v48
	s_or_b64 s[38:39], vcc, s[38:39]
	s_andn2_b64 exec, exec, s[38:39]
	s_cbranch_execz .LBB1_78
.LBB1_6:                                ; =>This Loop Header: Depth=1
                                        ;     Child Loop BB1_9 Depth 2
                                        ;       Child Loop BB1_14 Depth 3
                                        ;       Child Loop BB1_67 Depth 3
                                        ;         Child Loop BB1_70 Depth 4
                                        ;           Child Loop BB1_73 Depth 5
                                        ;       Child Loop BB1_77 Depth 3
	s_and_saveexec_b64 s[52:53], s[0:1]
	s_cbranch_execz .LBB1_5
; %bb.7:                                ;   in Loop: Header=BB1_6 Depth=1
	v_ashrrev_i32_e32 v7, 31, v47
	v_mul_lo_u32 v11, s19, v47
	v_mul_lo_u32 v12, s18, v7
	v_mad_u64_u32 v[7:8], s[6:7], s18, v47, 0
	v_mad_i64_i32 v[9:10], s[6:7], v47, s46, 0
	v_add3_u32 v8, v8, v12, v11
	v_mov_b32_e32 v11, s63
	v_subrev_co_u32_e32 v9, vcc, s74, v9
	v_subb_co_u32_e32 v10, vcc, v10, v11, vcc
	v_mov_b32_e32 v12, s65
	v_add_co_u32_e32 v11, vcc, s64, v9
	v_addc_co_u32_e32 v12, vcc, v10, v12, vcc
	v_cmp_gt_i64_e32 vcc, s[22:23], v[11:12]
	v_mov_b32_e32 v13, s23
	v_cndmask_b32_e32 v12, v13, v12, vcc
	v_mov_b32_e32 v13, s22
	v_cndmask_b32_e32 v11, v13, v11, vcc
	s_mov_b64 s[54:55], 0
	v_mov_b32_e32 v57, v49
	s_branch .LBB1_9
.LBB1_8:                                ;   in Loop: Header=BB1_9 Depth=2
	s_or_b64 exec, exec, s[12:13]
	v_add_u32_e32 v57, s60, v57
	v_cmp_ge_i32_e32 vcc, v57, v50
	s_or_b64 s[54:55], vcc, s[54:55]
	s_andn2_b64 exec, exec, s[54:55]
	s_cbranch_execz .LBB1_5
.LBB1_9:                                ;   Parent Loop BB1_6 Depth=1
                                        ; =>  This Loop Header: Depth=2
                                        ;       Child Loop BB1_14 Depth 3
                                        ;       Child Loop BB1_67 Depth 3
                                        ;         Child Loop BB1_70 Depth 4
                                        ;           Child Loop BB1_73 Depth 5
                                        ;       Child Loop BB1_77 Depth 3
	v_cmp_lt_i64_e32 vcc, 0, v[9:10]
	v_lshrrev_b32_e32 v19, 31, v10
	v_cndmask_b32_e32 v14, 0, v10, vcc
	v_cndmask_b32_e32 v13, 0, v9, vcc
	v_add_co_u32_e32 v15, vcc, v9, v19
	v_addc_co_u32_e32 v16, vcc, 0, v10, vcc
	v_sub_co_u32_e32 v13, vcc, v13, v15
	v_subb_co_u32_e32 v14, vcc, v14, v16, vcc
	v_or_b32_e32 v16, s70, v14
	v_mov_b32_e32 v15, v3
	v_cmp_ne_u64_e32 vcc, 0, v[15:16]
                                        ; implicit-def: $vgpr15_vgpr16
	s_and_saveexec_b64 s[6:7], vcc
	s_xor_b64 s[8:9], exec, s[6:7]
	s_cbranch_execz .LBB1_11
; %bb.10:                               ;   in Loop: Header=BB1_9 Depth=2
	v_cvt_f32_u32_e32 v15, s71
	v_cvt_f32_u32_e32 v16, s70
	s_sub_u32 s10, 0, s71
	s_subb_u32 s11, 0, s70
	v_mac_f32_e32 v15, 0x4f800000, v16
	v_rcp_f32_e32 v15, v15
	v_mul_f32_e32 v15, 0x5f7ffffc, v15
	v_mul_f32_e32 v16, 0x2f800000, v15
	v_trunc_f32_e32 v16, v16
	v_mac_f32_e32 v15, 0xcf800000, v16
	v_cvt_u32_f32_e32 v16, v16
	v_cvt_u32_f32_e32 v15, v15
	v_readfirstlane_b32 s12, v16
	v_readfirstlane_b32 s6, v15
	s_mul_i32 s7, s10, s12
	s_mul_hi_u32 s14, s10, s6
	s_mul_i32 s13, s11, s6
	s_add_i32 s7, s14, s7
	s_mul_i32 s15, s10, s6
	s_add_i32 s7, s7, s13
	s_mul_i32 s14, s6, s7
	s_mul_hi_u32 s16, s6, s15
	s_mul_hi_u32 s13, s6, s7
	s_add_u32 s14, s16, s14
	s_addc_u32 s13, 0, s13
	s_mul_hi_u32 s17, s12, s15
	s_mul_i32 s15, s12, s15
	s_add_u32 s14, s14, s15
	s_mul_hi_u32 s16, s12, s7
	s_addc_u32 s13, s13, s17
	s_addc_u32 s14, s16, 0
	s_mul_i32 s7, s12, s7
	s_add_u32 s7, s13, s7
	s_addc_u32 s13, 0, s14
	s_add_u32 s14, s6, s7
	s_cselect_b64 s[6:7], -1, 0
	s_cmp_lg_u64 s[6:7], 0
	s_addc_u32 s12, s12, s13
	s_mul_i32 s6, s10, s12
	s_mul_hi_u32 s7, s10, s14
	s_add_i32 s6, s7, s6
	s_mul_i32 s11, s11, s14
	s_add_i32 s6, s6, s11
	s_mul_i32 s10, s10, s14
	s_mul_hi_u32 s11, s12, s10
	s_mul_i32 s13, s12, s10
	s_mul_i32 s16, s14, s6
	s_mul_hi_u32 s10, s14, s10
	s_mul_hi_u32 s15, s14, s6
	s_add_u32 s10, s10, s16
	s_addc_u32 s15, 0, s15
	s_add_u32 s10, s10, s13
	s_mul_hi_u32 s7, s12, s6
	s_addc_u32 s10, s15, s11
	s_addc_u32 s7, s7, 0
	s_mul_i32 s6, s12, s6
	s_add_u32 s6, s10, s6
	s_addc_u32 s10, 0, s7
	s_add_u32 s11, s14, s6
	s_cselect_b64 s[6:7], -1, 0
	s_cmp_lg_u64 s[6:7], 0
	s_addc_u32 s10, s12, s10
	v_mad_u64_u32 v[15:16], s[6:7], v13, s10, 0
	v_mul_hi_u32 v17, v13, s11
	v_add_co_u32_e32 v20, vcc, v17, v15
	v_addc_co_u32_e32 v21, vcc, 0, v16, vcc
	v_mad_u64_u32 v[15:16], s[6:7], v14, s11, 0
	v_mad_u64_u32 v[17:18], s[6:7], v14, s10, 0
	v_add_co_u32_e32 v15, vcc, v20, v15
	v_addc_co_u32_e32 v15, vcc, v21, v16, vcc
	v_addc_co_u32_e32 v16, vcc, 0, v18, vcc
	v_add_co_u32_e32 v17, vcc, v15, v17
	v_addc_co_u32_e32 v18, vcc, 0, v16, vcc
	v_mul_lo_u32 v20, s70, v17
	v_mul_lo_u32 v21, s71, v18
	v_mad_u64_u32 v[15:16], s[6:7], s71, v17, 0
	v_add3_u32 v16, v16, v21, v20
	v_sub_u32_e32 v20, v14, v16
	v_mov_b32_e32 v21, s70
	v_sub_co_u32_e32 v13, vcc, v13, v15
	v_subb_co_u32_e64 v15, s[6:7], v20, v21, vcc
	v_subrev_co_u32_e64 v20, s[6:7], s71, v13
	v_subbrev_co_u32_e64 v15, s[6:7], 0, v15, s[6:7]
	v_cmp_le_u32_e64 s[6:7], s70, v15
	v_cndmask_b32_e64 v21, 0, -1, s[6:7]
	v_cmp_le_u32_e64 s[6:7], s71, v20
	v_cndmask_b32_e64 v20, 0, -1, s[6:7]
	v_cmp_eq_u32_e64 s[6:7], s70, v15
	v_cndmask_b32_e64 v15, v21, v20, s[6:7]
	v_add_co_u32_e64 v20, s[6:7], 2, v17
	v_subb_co_u32_e32 v14, vcc, v14, v16, vcc
	v_addc_co_u32_e64 v21, s[6:7], 0, v18, s[6:7]
	v_cmp_le_u32_e32 vcc, s70, v14
	v_add_co_u32_e64 v22, s[6:7], 1, v17
	v_cndmask_b32_e64 v16, 0, -1, vcc
	v_cmp_le_u32_e32 vcc, s71, v13
	v_addc_co_u32_e64 v23, s[6:7], 0, v18, s[6:7]
	v_cndmask_b32_e64 v13, 0, -1, vcc
	v_cmp_eq_u32_e32 vcc, s70, v14
	v_cmp_ne_u32_e64 s[6:7], 0, v15
	v_cndmask_b32_e32 v13, v16, v13, vcc
	v_cndmask_b32_e64 v15, v23, v21, s[6:7]
	v_cmp_ne_u32_e32 vcc, 0, v13
	v_cndmask_b32_e64 v13, v22, v20, s[6:7]
	v_cndmask_b32_e32 v16, v18, v15, vcc
	v_cndmask_b32_e32 v15, v17, v13, vcc
                                        ; implicit-def: $vgpr13
.LBB1_11:                               ;   in Loop: Header=BB1_9 Depth=2
	s_andn2_saveexec_b64 s[6:7], s[8:9]
	s_cbranch_execz .LBB1_13
; %bb.12:                               ;   in Loop: Header=BB1_9 Depth=2
	v_cvt_f32_u32_e32 v14, s71
	s_sub_i32 s8, 0, s71
	v_rcp_iflag_f32_e32 v14, v14
	v_mul_f32_e32 v14, 0x4f7ffffe, v14
	v_cvt_u32_f32_e32 v14, v14
	v_mul_lo_u32 v15, s8, v14
	v_mul_hi_u32 v15, v14, v15
	v_add_u32_e32 v14, v14, v15
	v_mul_hi_u32 v14, v13, v14
	v_mul_lo_u32 v15, v14, s71
	v_add_u32_e32 v16, 1, v14
	v_sub_u32_e32 v13, v13, v15
	v_subrev_u32_e32 v15, s71, v13
	v_cmp_le_u32_e32 vcc, s71, v13
	v_cndmask_b32_e32 v13, v13, v15, vcc
	v_cndmask_b32_e32 v14, v14, v16, vcc
	v_add_u32_e32 v15, 1, v14
	v_cmp_le_u32_e32 vcc, s71, v13
	v_cndmask_b32_e32 v15, v14, v15, vcc
	v_mov_b32_e32 v16, v3
.LBB1_13:                               ;   in Loop: Header=BB1_9 Depth=2
	s_or_b64 exec, exec, s[6:7]
	v_mad_i64_i32 v[17:18], s[6:7], s47, v57, 0
	v_mov_b32_e32 v14, s73
	s_mov_b64 s[6:7], 0
	v_add_co_u32_e32 v13, vcc, s72, v17
	v_addc_co_u32_e32 v14, vcc, v14, v18, vcc
.LBB1_14:                               ;   Parent Loop BB1_6 Depth=1
                                        ;     Parent Loop BB1_9 Depth=2
                                        ; =>    This Inner Loop Header: Depth=3
	v_mov_b32_e32 v20, s69
	v_add_co_u32_e32 v13, vcc, s77, v13
	v_addc_co_u32_e32 v14, vcc, v14, v20, vcc
	v_cmp_lt_i64_e32 vcc, -1, v[13:14]
	s_or_b64 s[6:7], vcc, s[6:7]
	s_andn2_b64 exec, exec, s[6:7]
	s_cbranch_execnz .LBB1_14
; %bb.15:                               ;   in Loop: Header=BB1_9 Depth=2
	s_or_b64 exec, exec, s[6:7]
	v_mov_b32_e32 v20, s66
	v_subrev_co_u32_e32 v17, vcc, s75, v17
	v_subb_co_u32_e32 v18, vcc, v18, v20, vcc
	v_mov_b32_e32 v20, s68
	v_add_co_u32_e32 v17, vcc, s67, v17
	v_addc_co_u32_e32 v18, vcc, v18, v20, vcc
	v_add_co_u32_e32 v15, vcc, v19, v15
	v_addc_co_u32_e32 v16, vcc, 0, v16, vcc
	v_mul_lo_u32 v20, v15, s35
	v_mul_lo_u32 v21, v16, s34
	v_mad_u64_u32 v[9:10], s[6:7], v15, s34, v[9:10]
	v_cmp_gt_i64_e32 vcc, s[24:25], v[17:18]
	v_mov_b32_e32 v19, s25
	v_mov_b32_e32 v15, s24
	v_cndmask_b32_e32 v16, v19, v18, vcc
	v_cndmask_b32_e32 v15, v15, v17, vcc
	v_add3_u32 v10, v21, v10, v20
	s_mov_b64 s[6:7], -1
	s_and_b64 vcc, exec, s[44:45]
	s_cbranch_vccnz .LBB1_18
; %bb.16:                               ;   in Loop: Header=BB1_9 Depth=2
	s_and_b64 vcc, exec, s[6:7]
	s_cbranch_vccnz .LBB1_64
.LBB1_17:                               ;   in Loop: Header=BB1_9 Depth=2
	s_and_saveexec_b64 s[12:13], s[4:5]
	s_cbranch_execz .LBB1_8
	s_branch .LBB1_76
.LBB1_18:                               ;   in Loop: Header=BB1_9 Depth=2
	v_ashrrev_i32_e32 v28, 31, v9
	v_mul_lo_u32 v19, s41, v9
	v_mul_lo_u32 v20, s40, v28
	v_mad_u64_u32 v[17:18], s[6:7], s40, v9, 0
	v_mov_b32_e32 v27, v9
	v_cmp_le_i64_e32 vcc, v[11:12], v[27:28]
	v_add3_u32 v18, v18, v20, v19
	v_lshlrev_b64 v[19:20], 3, v[17:18]
	v_ashrrev_i32_e32 v18, 31, v13
	v_mov_b32_e32 v17, v13
	v_cmp_le_i64_e64 s[10:11], v[15:16], v[17:18]
	v_add_co_u32_e64 v29, s[6:7], v51, v19
	v_mul_lo_u32 v43, s43, v17
	v_mul_lo_u32 v44, s42, v18
	v_addc_co_u32_e64 v30, s[6:7], v52, v20, s[6:7]
	s_or_b64 s[6:7], vcc, s[10:11]
	v_mov_b32_e32 v23, 0
	v_mov_b32_e32 v31, 0
	;; [unrolled: 1-line block ×4, first 2 shown]
	s_nor_b64 s[6:7], s[6:7], s[2:3]
	s_and_saveexec_b64 s[8:9], s[6:7]
	s_cbranch_execz .LBB1_20
; %bb.19:                               ;   in Loop: Header=BB1_9 Depth=2
	v_mad_u64_u32 v[19:20], s[6:7], s42, v17, 0
	v_add3_u32 v20, v20, v44, v43
	v_lshlrev_b64 v[19:20], 3, v[19:20]
	v_add_co_u32_e64 v19, s[6:7], v29, v19
	v_addc_co_u32_e64 v20, s[6:7], v30, v20, s[6:7]
	global_load_dwordx2 v[31:32], v[19:20], off
.LBB1_20:                               ;   in Loop: Header=BB1_9 Depth=2
	s_or_b64 exec, exec, s[8:9]
	v_add_u32_e32 v19, s51, v13
	v_ashrrev_i32_e32 v20, 31, v19
	v_cmp_le_i64_e64 s[12:13], v[15:16], v[19:20]
	v_mul_lo_u32 v58, s43, v19
	v_mul_lo_u32 v59, s42, v20
	s_or_b64 s[6:7], vcc, s[12:13]
	s_nor_b64 s[6:7], s[6:7], s[2:3]
	s_and_saveexec_b64 s[8:9], s[6:7]
	s_cbranch_execz .LBB1_22
; %bb.21:                               ;   in Loop: Header=BB1_9 Depth=2
	v_mad_u64_u32 v[21:22], s[6:7], s42, v19, 0
	v_add3_u32 v22, v22, v59, v58
	v_lshlrev_b64 v[21:22], 3, v[21:22]
	v_add_co_u32_e64 v21, s[6:7], v29, v21
	v_addc_co_u32_e64 v22, s[6:7], v30, v22, s[6:7]
	global_load_dwordx2 v[23:24], v[21:22], off
.LBB1_22:                               ;   in Loop: Header=BB1_9 Depth=2
	s_or_b64 exec, exec, s[8:9]
	v_add_u32_e32 v21, s51, v19
	v_ashrrev_i32_e32 v22, 31, v21
	v_cmp_le_i64_e64 s[14:15], v[15:16], v[21:22]
	v_mul_lo_u32 v60, s43, v21
	v_mul_lo_u32 v61, s42, v22
	s_or_b64 s[6:7], vcc, s[14:15]
	v_mov_b32_e32 v25, 0
	v_mov_b32_e32 v35, 0
	;; [unrolled: 1-line block ×4, first 2 shown]
	s_nor_b64 s[6:7], s[6:7], s[2:3]
	s_and_saveexec_b64 s[8:9], s[6:7]
	s_cbranch_execz .LBB1_24
; %bb.23:                               ;   in Loop: Header=BB1_9 Depth=2
	v_mad_u64_u32 v[33:34], s[6:7], s42, v21, 0
	v_add3_u32 v34, v34, v61, v60
	v_lshlrev_b64 v[33:34], 3, v[33:34]
	v_add_co_u32_e64 v29, s[6:7], v29, v33
	v_addc_co_u32_e64 v30, s[6:7], v30, v34, s[6:7]
	global_load_dwordx2 v[35:36], v[29:30], off
.LBB1_24:                               ;   in Loop: Header=BB1_9 Depth=2
	s_or_b64 exec, exec, s[8:9]
	v_add_u32_e32 v37, s50, v9
	v_ashrrev_i32_e32 v38, 31, v37
	v_mul_lo_u32 v33, s41, v37
	v_mad_u64_u32 v[29:30], s[6:7], s40, v37, 0
	v_mul_lo_u32 v34, s40, v38
	v_cmp_le_i64_e64 s[6:7], v[11:12], v[37:38]
	v_add3_u32 v30, v30, v34, v33
	v_lshlrev_b64 v[29:30], 3, v[29:30]
	v_add_co_u32_e64 v33, s[8:9], v51, v29
	v_addc_co_u32_e64 v34, s[8:9], v52, v30, s[8:9]
	s_or_b64 s[8:9], s[6:7], s[10:11]
	s_nor_b64 s[8:9], s[8:9], s[2:3]
	s_and_saveexec_b64 s[16:17], s[8:9]
	s_cbranch_execz .LBB1_26
; %bb.25:                               ;   in Loop: Header=BB1_9 Depth=2
	v_mad_u64_u32 v[25:26], s[8:9], s42, v17, 0
	v_add3_u32 v26, v26, v44, v43
	v_lshlrev_b64 v[25:26], 3, v[25:26]
	v_add_co_u32_e64 v25, s[8:9], v33, v25
	v_addc_co_u32_e64 v26, s[8:9], v34, v26, s[8:9]
	global_load_dwordx2 v[25:26], v[25:26], off
.LBB1_26:                               ;   in Loop: Header=BB1_9 Depth=2
	s_or_b64 exec, exec, s[16:17]
	s_or_b64 s[8:9], s[6:7], s[12:13]
	v_mov_b32_e32 v29, 0
	v_mov_b32_e32 v39, 0
	;; [unrolled: 1-line block ×4, first 2 shown]
	s_nor_b64 s[8:9], s[8:9], s[2:3]
	s_and_saveexec_b64 s[16:17], s[8:9]
	s_cbranch_execz .LBB1_28
; %bb.27:                               ;   in Loop: Header=BB1_9 Depth=2
	v_mad_u64_u32 v[39:40], s[8:9], s42, v19, 0
	v_add3_u32 v40, v40, v59, v58
	v_lshlrev_b64 v[39:40], 3, v[39:40]
	v_add_co_u32_e64 v39, s[8:9], v33, v39
	v_addc_co_u32_e64 v40, s[8:9], v34, v40, s[8:9]
	global_load_dwordx2 v[39:40], v[39:40], off
.LBB1_28:                               ;   in Loop: Header=BB1_9 Depth=2
	s_or_b64 exec, exec, s[16:17]
	s_or_b64 s[8:9], s[6:7], s[14:15]
	s_nor_b64 s[8:9], s[8:9], s[2:3]
	s_and_saveexec_b64 s[16:17], s[8:9]
	s_cbranch_execz .LBB1_30
; %bb.29:                               ;   in Loop: Header=BB1_9 Depth=2
	v_mad_u64_u32 v[29:30], s[8:9], s42, v21, 0
	v_add3_u32 v30, v30, v61, v60
	v_lshlrev_b64 v[29:30], 3, v[29:30]
	v_add_co_u32_e64 v29, s[8:9], v33, v29
	v_addc_co_u32_e64 v30, s[8:9], v34, v30, s[8:9]
	global_load_dwordx2 v[29:30], v[29:30], off
.LBB1_30:                               ;   in Loop: Header=BB1_9 Depth=2
	s_or_b64 exec, exec, s[16:17]
	v_add_u32_e32 v41, s50, v37
	v_ashrrev_i32_e32 v42, 31, v41
	v_mul_lo_u32 v45, s41, v41
	v_mad_u64_u32 v[33:34], s[8:9], s40, v41, 0
	v_mul_lo_u32 v46, s40, v42
	v_cmp_le_i64_e64 s[8:9], v[11:12], v[41:42]
	v_add3_u32 v34, v34, v46, v45
	v_lshlrev_b64 v[33:34], 3, v[33:34]
	v_mov_b32_e32 v45, 0
	v_add_co_u32_e64 v62, s[16:17], v51, v33
	v_addc_co_u32_e64 v63, s[16:17], v52, v34, s[16:17]
	s_or_b64 s[16:17], s[8:9], s[10:11]
	v_mov_b32_e32 v33, 0
	v_mov_b32_e32 v34, 0
	;; [unrolled: 1-line block ×3, first 2 shown]
	s_nor_b64 s[16:17], s[16:17], s[2:3]
	s_and_saveexec_b64 s[56:57], s[16:17]
	s_cbranch_execz .LBB1_32
; %bb.31:                               ;   in Loop: Header=BB1_9 Depth=2
	v_mad_u64_u32 v[45:46], s[16:17], s42, v17, 0
	v_add3_u32 v46, v46, v44, v43
	v_lshlrev_b64 v[43:44], 3, v[45:46]
	v_add_co_u32_e64 v43, s[16:17], v62, v43
	v_addc_co_u32_e64 v44, s[16:17], v63, v44, s[16:17]
	global_load_dwordx2 v[45:46], v[43:44], off
.LBB1_32:                               ;   in Loop: Header=BB1_9 Depth=2
	s_or_b64 exec, exec, s[56:57]
	s_or_b64 s[16:17], s[8:9], s[12:13]
	s_nor_b64 s[16:17], s[16:17], s[2:3]
	s_and_saveexec_b64 s[56:57], s[16:17]
	s_cbranch_execz .LBB1_34
; %bb.33:                               ;   in Loop: Header=BB1_9 Depth=2
	v_mad_u64_u32 v[33:34], s[16:17], s42, v19, 0
	v_add3_u32 v34, v34, v59, v58
	v_lshlrev_b64 v[33:34], 3, v[33:34]
	v_add_co_u32_e64 v33, s[16:17], v62, v33
	v_addc_co_u32_e64 v34, s[16:17], v63, v34, s[16:17]
	global_load_dwordx2 v[33:34], v[33:34], off
.LBB1_34:                               ;   in Loop: Header=BB1_9 Depth=2
	s_or_b64 exec, exec, s[56:57]
	s_or_b64 s[16:17], s[8:9], s[14:15]
	v_mov_b32_e32 v43, 0
	v_mov_b32_e32 v44, 0
	s_nor_b64 s[16:17], s[16:17], s[2:3]
	s_and_saveexec_b64 s[56:57], s[16:17]
	s_cbranch_execz .LBB1_36
; %bb.35:                               ;   in Loop: Header=BB1_9 Depth=2
	v_mad_u64_u32 v[43:44], s[16:17], s42, v21, 0
	v_add3_u32 v44, v44, v61, v60
	v_lshlrev_b64 v[43:44], 3, v[43:44]
	v_add_co_u32_e64 v43, s[16:17], v62, v43
	v_addc_co_u32_e64 v44, s[16:17], v63, v44, s[16:17]
	global_load_dwordx2 v[43:44], v[43:44], off
.LBB1_36:                               ;   in Loop: Header=BB1_9 Depth=2
	s_or_b64 exec, exec, s[56:57]
	v_mul_lo_u32 v58, s25, v27
	v_mul_lo_u32 v59, s24, v28
	v_mad_u64_u32 v[27:28], s[16:17], s24, v27, 0
	s_or_b64 s[56:57], s[2:3], s[10:11]
	s_nor_b64 s[10:11], vcc, s[56:57]
	v_add3_u32 v28, v28, v59, v58
	s_and_saveexec_b64 s[58:59], s[10:11]
	s_cbranch_execz .LBB1_39
; %bb.37:                               ;   in Loop: Header=BB1_9 Depth=2
	ds_read_b64 v[58:59], v0
	s_waitcnt vmcnt(0)
	v_cmp_u_f64_e64 s[16:17], v[31:32], v[31:32]
	s_waitcnt lgkmcnt(0)
	v_cmp_gt_f64_e64 s[10:11], v[31:32], v[58:59]
	s_or_b64 s[10:11], s[16:17], s[10:11]
	s_and_b64 exec, exec, s[10:11]
	s_cbranch_execz .LBB1_39
; %bb.38:                               ;   in Loop: Header=BB1_9 Depth=2
	v_add_co_u32_e64 v58, s[10:11], v27, v17
	v_addc_co_u32_e64 v59, s[10:11], v28, v18, s[10:11]
	ds_write_b64 v0, v[31:32]
	ds_write_b64 v54, v[58:59]
.LBB1_39:                               ;   in Loop: Header=BB1_9 Depth=2
	s_or_b64 exec, exec, s[58:59]
	s_or_b64 s[16:17], s[2:3], s[12:13]
	s_nor_b64 s[10:11], vcc, s[16:17]
	s_and_saveexec_b64 s[58:59], s[10:11]
	s_cbranch_execz .LBB1_42
; %bb.40:                               ;   in Loop: Header=BB1_9 Depth=2
	s_waitcnt vmcnt(0)
	ds_read_b64 v[31:32], v0
	v_cmp_u_f64_e64 s[12:13], v[23:24], v[23:24]
	s_waitcnt lgkmcnt(0)
	v_cmp_gt_f64_e64 s[10:11], v[23:24], v[31:32]
	s_or_b64 s[10:11], s[12:13], s[10:11]
	s_and_b64 exec, exec, s[10:11]
	s_cbranch_execz .LBB1_42
; %bb.41:                               ;   in Loop: Header=BB1_9 Depth=2
	v_add_co_u32_e64 v31, s[10:11], v27, v19
	v_addc_co_u32_e64 v32, s[10:11], v28, v20, s[10:11]
	ds_write_b64 v0, v[23:24]
	ds_write_b64 v54, v[31:32]
.LBB1_42:                               ;   in Loop: Header=BB1_9 Depth=2
	s_or_b64 exec, exec, s[58:59]
	s_or_b64 s[12:13], s[2:3], s[14:15]
	s_nor_b64 s[10:11], vcc, s[12:13]
	s_and_saveexec_b64 s[14:15], s[10:11]
	s_cbranch_execz .LBB1_45
; %bb.43:                               ;   in Loop: Header=BB1_9 Depth=2
	s_waitcnt vmcnt(0)
	ds_read_b64 v[23:24], v0
	v_cmp_u_f64_e64 s[10:11], v[35:36], v[35:36]
	s_waitcnt lgkmcnt(0)
	v_cmp_gt_f64_e32 vcc, v[35:36], v[23:24]
	s_or_b64 s[10:11], s[10:11], vcc
	s_and_b64 exec, exec, s[10:11]
	s_cbranch_execz .LBB1_45
; %bb.44:                               ;   in Loop: Header=BB1_9 Depth=2
	v_add_co_u32_e32 v23, vcc, v27, v21
	v_addc_co_u32_e32 v24, vcc, v28, v22, vcc
	ds_write_b64 v0, v[35:36]
	ds_write_b64 v54, v[23:24]
.LBB1_45:                               ;   in Loop: Header=BB1_9 Depth=2
	s_or_b64 exec, exec, s[14:15]
	v_mul_lo_u32 v27, s25, v37
	v_mul_lo_u32 v28, s24, v38
	s_waitcnt vmcnt(0)
	v_mad_u64_u32 v[23:24], s[10:11], s24, v37, 0
	s_nor_b64 s[10:11], s[6:7], s[56:57]
	v_add3_u32 v24, v24, v28, v27
	s_and_saveexec_b64 s[14:15], s[10:11]
	s_cbranch_execz .LBB1_48
; %bb.46:                               ;   in Loop: Header=BB1_9 Depth=2
	ds_read_b64 v[27:28], v0
	v_cmp_u_f64_e64 s[10:11], v[25:26], v[25:26]
	s_waitcnt lgkmcnt(0)
	v_cmp_gt_f64_e32 vcc, v[25:26], v[27:28]
	s_or_b64 s[10:11], s[10:11], vcc
	s_and_b64 exec, exec, s[10:11]
	s_cbranch_execz .LBB1_48
; %bb.47:                               ;   in Loop: Header=BB1_9 Depth=2
	v_add_co_u32_e32 v27, vcc, v23, v17
	v_addc_co_u32_e32 v28, vcc, v24, v18, vcc
	ds_write_b64 v0, v[25:26]
	ds_write_b64 v54, v[27:28]
.LBB1_48:                               ;   in Loop: Header=BB1_9 Depth=2
	s_or_b64 exec, exec, s[14:15]
	s_nor_b64 s[10:11], s[6:7], s[16:17]
	s_and_saveexec_b64 s[14:15], s[10:11]
	s_cbranch_execz .LBB1_51
; %bb.49:                               ;   in Loop: Header=BB1_9 Depth=2
	ds_read_b64 v[25:26], v0
	v_cmp_u_f64_e64 s[10:11], v[39:40], v[39:40]
	s_waitcnt lgkmcnt(0)
	v_cmp_gt_f64_e32 vcc, v[39:40], v[25:26]
	s_or_b64 s[10:11], s[10:11], vcc
	s_and_b64 exec, exec, s[10:11]
	s_cbranch_execz .LBB1_51
; %bb.50:                               ;   in Loop: Header=BB1_9 Depth=2
	v_add_co_u32_e32 v25, vcc, v23, v19
	v_addc_co_u32_e32 v26, vcc, v24, v20, vcc
	ds_write_b64 v0, v[39:40]
	ds_write_b64 v54, v[25:26]
.LBB1_51:                               ;   in Loop: Header=BB1_9 Depth=2
	s_or_b64 exec, exec, s[14:15]
	s_nor_b64 s[6:7], s[6:7], s[12:13]
	s_and_saveexec_b64 s[10:11], s[6:7]
	s_cbranch_execz .LBB1_54
; %bb.52:                               ;   in Loop: Header=BB1_9 Depth=2
	ds_read_b64 v[25:26], v0
	v_cmp_u_f64_e64 s[6:7], v[29:30], v[29:30]
	s_waitcnt lgkmcnt(0)
	v_cmp_gt_f64_e32 vcc, v[29:30], v[25:26]
	s_or_b64 s[6:7], s[6:7], vcc
	s_and_b64 exec, exec, s[6:7]
	s_cbranch_execz .LBB1_54
; %bb.53:                               ;   in Loop: Header=BB1_9 Depth=2
	v_add_co_u32_e32 v23, vcc, v23, v21
	v_addc_co_u32_e32 v24, vcc, v24, v22, vcc
	ds_write_b64 v0, v[29:30]
	ds_write_b64 v54, v[23:24]
.LBB1_54:                               ;   in Loop: Header=BB1_9 Depth=2
	s_or_b64 exec, exec, s[10:11]
	v_mul_lo_u32 v25, s25, v41
	v_mul_lo_u32 v26, s24, v42
	v_mad_u64_u32 v[23:24], s[6:7], s24, v41, 0
	s_nor_b64 s[6:7], s[8:9], s[56:57]
	v_add3_u32 v24, v24, v26, v25
	s_and_saveexec_b64 s[10:11], s[6:7]
	s_cbranch_execz .LBB1_57
; %bb.55:                               ;   in Loop: Header=BB1_9 Depth=2
	ds_read_b64 v[25:26], v0
	v_cmp_u_f64_e64 s[6:7], v[45:46], v[45:46]
	s_waitcnt lgkmcnt(0)
	v_cmp_gt_f64_e32 vcc, v[45:46], v[25:26]
	s_or_b64 s[6:7], s[6:7], vcc
	s_and_b64 exec, exec, s[6:7]
	s_cbranch_execz .LBB1_57
; %bb.56:                               ;   in Loop: Header=BB1_9 Depth=2
	v_add_co_u32_e32 v17, vcc, v23, v17
	v_addc_co_u32_e32 v18, vcc, v24, v18, vcc
	ds_write_b64 v0, v[45:46]
	ds_write_b64 v54, v[17:18]
.LBB1_57:                               ;   in Loop: Header=BB1_9 Depth=2
	s_or_b64 exec, exec, s[10:11]
	s_nor_b64 s[6:7], s[8:9], s[16:17]
	s_and_saveexec_b64 s[10:11], s[6:7]
	s_cbranch_execz .LBB1_60
; %bb.58:                               ;   in Loop: Header=BB1_9 Depth=2
	ds_read_b64 v[17:18], v0
	v_cmp_u_f64_e64 s[6:7], v[33:34], v[33:34]
	s_waitcnt lgkmcnt(0)
	v_cmp_gt_f64_e32 vcc, v[33:34], v[17:18]
	s_or_b64 s[6:7], s[6:7], vcc
	s_and_b64 exec, exec, s[6:7]
	s_cbranch_execz .LBB1_60
; %bb.59:                               ;   in Loop: Header=BB1_9 Depth=2
	v_add_co_u32_e32 v17, vcc, v23, v19
	v_addc_co_u32_e32 v18, vcc, v24, v20, vcc
	ds_write_b64 v0, v[33:34]
	ds_write_b64 v54, v[17:18]
.LBB1_60:                               ;   in Loop: Header=BB1_9 Depth=2
	s_or_b64 exec, exec, s[10:11]
	s_nor_b64 s[6:7], s[8:9], s[12:13]
	s_and_saveexec_b64 s[8:9], s[6:7]
	s_cbranch_execz .LBB1_63
; %bb.61:                               ;   in Loop: Header=BB1_9 Depth=2
	ds_read_b64 v[17:18], v0
	v_cmp_u_f64_e64 s[6:7], v[43:44], v[43:44]
	s_waitcnt lgkmcnt(0)
	v_cmp_gt_f64_e32 vcc, v[43:44], v[17:18]
	s_or_b64 s[6:7], s[6:7], vcc
	s_and_b64 exec, exec, s[6:7]
	s_cbranch_execz .LBB1_63
; %bb.62:                               ;   in Loop: Header=BB1_9 Depth=2
	v_add_co_u32_e32 v17, vcc, v23, v21
	v_addc_co_u32_e32 v18, vcc, v24, v22, vcc
	ds_write_b64 v0, v[43:44]
	ds_write_b64 v54, v[17:18]
.LBB1_63:                               ;   in Loop: Header=BB1_9 Depth=2
	s_or_b64 exec, exec, s[8:9]
	s_branch .LBB1_17
.LBB1_64:                               ;   in Loop: Header=BB1_9 Depth=2
	v_cmp_lt_i64_e32 vcc, v[9:10], v[11:12]
	s_and_saveexec_b64 s[10:11], vcc
	s_cbranch_execz .LBB1_75
; %bb.65:                               ;   in Loop: Header=BB1_9 Depth=2
	v_cmp_lt_i64_e32 vcc, v[13:14], v[15:16]
	v_mov_b32_e32 v18, v10
	s_mov_b64 s[12:13], 0
	v_mov_b32_e32 v17, v9
	s_branch .LBB1_67
.LBB1_66:                               ;   in Loop: Header=BB1_67 Depth=3
	s_or_b64 exec, exec, s[14:15]
	v_mov_b32_e32 v19, s35
	v_add_co_u32_e64 v17, s[6:7], s34, v17
	v_addc_co_u32_e64 v18, s[6:7], v18, v19, s[6:7]
	v_cmp_ge_i64_e64 s[6:7], v[17:18], v[11:12]
	s_or_b64 s[12:13], s[6:7], s[12:13]
	s_andn2_b64 exec, exec, s[12:13]
	s_cbranch_execz .LBB1_75
.LBB1_67:                               ;   Parent Loop BB1_6 Depth=1
                                        ;     Parent Loop BB1_9 Depth=2
                                        ; =>    This Loop Header: Depth=3
                                        ;         Child Loop BB1_70 Depth 4
                                        ;           Child Loop BB1_73 Depth 5
	s_and_saveexec_b64 s[14:15], vcc
	s_cbranch_execz .LBB1_66
; %bb.68:                               ;   in Loop: Header=BB1_67 Depth=3
	v_mul_lo_u32 v21, v18, s40
	v_mul_lo_u32 v22, v17, s41
	v_mad_u64_u32 v[19:20], s[6:7], v17, s40, 0
	v_mul_lo_u32 v24, v18, s24
	v_mul_lo_u32 v25, v17, s25
	v_add3_u32 v20, v20, v22, v21
	v_lshlrev_b64 v[21:22], 3, v[19:20]
	v_mad_u64_u32 v[19:20], s[6:7], v17, s24, 0
	v_mov_b32_e32 v23, s62
	v_add_co_u32_e64 v31, s[6:7], s61, v21
	v_addc_co_u32_e64 v32, s[6:7], v23, v22, s[6:7]
	v_mov_b32_e32 v22, v14
	v_add3_u32 v20, v20, v25, v24
	s_mov_b64 s[16:17], 0
	v_mov_b32_e32 v21, v13
	s_branch .LBB1_70
.LBB1_69:                               ;   in Loop: Header=BB1_70 Depth=4
	s_or_b64 exec, exec, s[56:57]
	v_mov_b32_e32 v23, s69
	v_add_co_u32_e64 v21, s[6:7], s77, v21
	v_addc_co_u32_e64 v22, s[6:7], v22, v23, s[6:7]
	v_cmp_ge_i64_e64 s[6:7], v[21:22], v[15:16]
	s_or_b64 s[16:17], s[6:7], s[16:17]
	s_andn2_b64 exec, exec, s[16:17]
	s_cbranch_execz .LBB1_66
.LBB1_70:                               ;   Parent Loop BB1_6 Depth=1
                                        ;     Parent Loop BB1_9 Depth=2
                                        ;       Parent Loop BB1_67 Depth=3
                                        ; =>      This Loop Header: Depth=4
                                        ;           Child Loop BB1_73 Depth 5
	s_and_saveexec_b64 s[56:57], s[4:5]
	s_cbranch_execz .LBB1_69
; %bb.71:                               ;   in Loop: Header=BB1_70 Depth=4
	v_mul_lo_u32 v25, v22, s42
	v_mul_lo_u32 v26, v21, s43
	v_mad_u64_u32 v[23:24], s[6:7], v21, s42, 0
	v_mov_b32_e32 v28, v2
	s_mov_b64 s[58:59], 0
	v_add3_u32 v24, v24, v26, v25
	v_lshlrev_b64 v[23:24], 3, v[23:24]
	v_mov_b32_e32 v26, v6
	v_add_co_u32_e64 v33, s[6:7], v31, v23
	v_addc_co_u32_e64 v34, s[6:7], v32, v24, s[6:7]
	v_add_co_u32_e64 v23, s[6:7], v21, v19
	v_addc_co_u32_e64 v24, s[6:7], v22, v20, s[6:7]
	v_mov_b32_e32 v35, v53
	v_mov_b32_e32 v25, v5
	;; [unrolled: 1-line block ×3, first 2 shown]
	s_branch .LBB1_73
.LBB1_72:                               ;   in Loop: Header=BB1_73 Depth=5
	s_or_b64 exec, exec, s[6:7]
	v_mov_b32_e32 v29, s37
	v_add_co_u32_e64 v27, s[6:7], s36, v27
	v_addc_co_u32_e64 v28, s[6:7], v28, v29, s[6:7]
	v_cmp_le_i64_e64 s[6:7], s[20:21], v[27:28]
	v_mov_b32_e32 v29, s76
	v_add_co_u32_e64 v25, s[8:9], s78, v25
	v_addc_co_u32_e64 v26, s[8:9], v26, v29, s[8:9]
	s_or_b64 s[58:59], s[6:7], s[58:59]
	v_add_u32_e32 v35, s79, v35
	s_andn2_b64 exec, exec, s[58:59]
	s_cbranch_execz .LBB1_69
.LBB1_73:                               ;   Parent Loop BB1_6 Depth=1
                                        ;     Parent Loop BB1_9 Depth=2
                                        ;       Parent Loop BB1_67 Depth=3
                                        ;         Parent Loop BB1_70 Depth=4
                                        ; =>        This Inner Loop Header: Depth=5
	v_lshlrev_b64 v[29:30], 3, v[25:26]
	v_add_u32_e32 v36, v35, v55
	v_add_co_u32_e64 v29, s[6:7], v33, v29
	v_addc_co_u32_e64 v30, s[6:7], v34, v30, s[6:7]
	global_load_dwordx2 v[29:30], v[29:30], off
	ds_read_b64 v[37:38], v36
	s_waitcnt vmcnt(0) lgkmcnt(0)
	v_cmp_gt_f64_e64 s[6:7], v[29:30], v[37:38]
	v_cmp_u_f64_e64 s[8:9], v[29:30], v[29:30]
	s_or_b64 s[8:9], s[8:9], s[6:7]
	s_and_saveexec_b64 s[6:7], s[8:9]
	s_cbranch_execz .LBB1_72
; %bb.74:                               ;   in Loop: Header=BB1_73 Depth=5
	ds_write_b64 v36, v[29:30]
	v_add_u32_e32 v29, v35, v56
	ds_write_b64 v29, v[23:24]
	s_branch .LBB1_72
.LBB1_75:                               ;   in Loop: Header=BB1_9 Depth=2
	s_or_b64 exec, exec, s[10:11]
	s_and_saveexec_b64 s[12:13], s[4:5]
	s_cbranch_execz .LBB1_8
.LBB1_76:                               ;   in Loop: Header=BB1_9 Depth=2
	v_ashrrev_i32_e32 v14, 31, v57
	v_add_co_u32_e32 v13, vcc, v7, v57
	v_addc_co_u32_e32 v14, vcc, v8, v14, vcc
	v_lshlrev_b64 v[13:14], 3, v[13:14]
	v_mov_b32_e32 v15, s27
	v_add_co_u32_e32 v16, vcc, s26, v13
	v_addc_co_u32_e32 v13, vcc, v15, v14, vcc
	v_mul_lo_u32 v15, s20, v13
	v_lshlrev_b64 v[13:14], 3, v[1:2]
	v_mul_lo_u32 v17, s21, v16
	v_mad_u64_u32 v[13:14], s[6:7], s20, v16, v[13:14]
	s_mov_b64 s[14:15], 0
	v_add3_u32 v14, v17, v14, v15
	v_mov_b32_e32 v16, v2
	v_mov_b32_e32 v17, v53
	;; [unrolled: 1-line block ×3, first 2 shown]
.LBB1_77:                               ;   Parent Loop BB1_6 Depth=1
                                        ;     Parent Loop BB1_9 Depth=2
                                        ; =>    This Inner Loop Header: Depth=3
	v_add_u32_e32 v28, v17, v55
	s_waitcnt lgkmcnt(0)
	v_mov_b32_e32 v19, s29
	v_add_co_u32_e32 v18, vcc, s28, v13
	v_add_u32_e32 v29, v17, v56
	v_mov_b32_e32 v21, s31
	v_add_co_u32_e64 v20, s[6:7], s30, v13
	v_mov_b32_e32 v30, s37
	v_add_co_u32_e64 v15, s[8:9], s36, v15
	;; [unrolled: 2-line block ×3, first 2 shown]
	ds_read_b64 v[24:25], v28
	ds_read_b64 v[26:27], v29
	v_addc_co_u32_e32 v19, vcc, v19, v14, vcc
	v_addc_co_u32_e64 v21, vcc, v21, v14, s[6:7]
	v_addc_co_u32_e64 v16, vcc, v16, v30, s[8:9]
	;; [unrolled: 1-line block ×3, first 2 shown]
	v_cmp_le_i64_e32 vcc, s[20:21], v[15:16]
	v_add_u32_e32 v17, s79, v17
	s_or_b64 s[14:15], vcc, s[14:15]
	v_mov_b32_e32 v22, v3
	v_mov_b32_e32 v23, v3
	ds_write_b64 v28, v[3:4]
	ds_write_b64 v29, v[22:23]
	s_waitcnt lgkmcnt(3)
	global_store_dwordx2 v[18:19], v[24:25], off
	s_waitcnt lgkmcnt(2)
	global_store_dwordx2 v[20:21], v[26:27], off
	s_andn2_b64 exec, exec, s[14:15]
	s_cbranch_execnz .LBB1_77
	s_branch .LBB1_8
.LBB1_78:
	s_endpgm
	.section	.rodata,"a",@progbits
	.p2align	6, 0x0
	.amdhsa_kernel _ZN2at6native12_GLOBAL__N_121max_pool_forward_nhwcIdlEEvPKT_iT0_S6_S6_S6_S6_iiiiiiiiS6_S6_S6_S6_iiPS3_Pl
		.amdhsa_group_segment_fixed_size 0
		.amdhsa_private_segment_fixed_size 0
		.amdhsa_kernarg_size 400
		.amdhsa_user_sgpr_count 6
		.amdhsa_user_sgpr_private_segment_buffer 1
		.amdhsa_user_sgpr_dispatch_ptr 0
		.amdhsa_user_sgpr_queue_ptr 0
		.amdhsa_user_sgpr_kernarg_segment_ptr 1
		.amdhsa_user_sgpr_dispatch_id 0
		.amdhsa_user_sgpr_flat_scratch_init 0
		.amdhsa_user_sgpr_private_segment_size 0
		.amdhsa_uses_dynamic_stack 0
		.amdhsa_system_sgpr_private_segment_wavefront_offset 0
		.amdhsa_system_sgpr_workgroup_id_x 1
		.amdhsa_system_sgpr_workgroup_id_y 1
		.amdhsa_system_sgpr_workgroup_id_z 1
		.amdhsa_system_sgpr_workgroup_info 0
		.amdhsa_system_vgpr_workitem_id 2
		.amdhsa_next_free_vgpr 64
		.amdhsa_next_free_sgpr 80
		.amdhsa_reserve_vcc 1
		.amdhsa_reserve_flat_scratch 0
		.amdhsa_float_round_mode_32 0
		.amdhsa_float_round_mode_16_64 0
		.amdhsa_float_denorm_mode_32 3
		.amdhsa_float_denorm_mode_16_64 3
		.amdhsa_dx10_clamp 1
		.amdhsa_ieee_mode 1
		.amdhsa_fp16_overflow 0
		.amdhsa_exception_fp_ieee_invalid_op 0
		.amdhsa_exception_fp_denorm_src 0
		.amdhsa_exception_fp_ieee_div_zero 0
		.amdhsa_exception_fp_ieee_overflow 0
		.amdhsa_exception_fp_ieee_underflow 0
		.amdhsa_exception_fp_ieee_inexact 0
		.amdhsa_exception_int_div_zero 0
	.end_amdhsa_kernel
	.section	.text._ZN2at6native12_GLOBAL__N_121max_pool_forward_nhwcIdlEEvPKT_iT0_S6_S6_S6_S6_iiiiiiiiS6_S6_S6_S6_iiPS3_Pl,"axG",@progbits,_ZN2at6native12_GLOBAL__N_121max_pool_forward_nhwcIdlEEvPKT_iT0_S6_S6_S6_S6_iiiiiiiiS6_S6_S6_S6_iiPS3_Pl,comdat
.Lfunc_end1:
	.size	_ZN2at6native12_GLOBAL__N_121max_pool_forward_nhwcIdlEEvPKT_iT0_S6_S6_S6_S6_iiiiiiiiS6_S6_S6_S6_iiPS3_Pl, .Lfunc_end1-_ZN2at6native12_GLOBAL__N_121max_pool_forward_nhwcIdlEEvPKT_iT0_S6_S6_S6_S6_iiiiiiiiS6_S6_S6_S6_iiPS3_Pl
                                        ; -- End function
	.set _ZN2at6native12_GLOBAL__N_121max_pool_forward_nhwcIdlEEvPKT_iT0_S6_S6_S6_S6_iiiiiiiiS6_S6_S6_S6_iiPS3_Pl.num_vgpr, 64
	.set _ZN2at6native12_GLOBAL__N_121max_pool_forward_nhwcIdlEEvPKT_iT0_S6_S6_S6_S6_iiiiiiiiS6_S6_S6_S6_iiPS3_Pl.num_agpr, 0
	.set _ZN2at6native12_GLOBAL__N_121max_pool_forward_nhwcIdlEEvPKT_iT0_S6_S6_S6_S6_iiiiiiiiS6_S6_S6_S6_iiPS3_Pl.numbered_sgpr, 80
	.set _ZN2at6native12_GLOBAL__N_121max_pool_forward_nhwcIdlEEvPKT_iT0_S6_S6_S6_S6_iiiiiiiiS6_S6_S6_S6_iiPS3_Pl.num_named_barrier, 0
	.set _ZN2at6native12_GLOBAL__N_121max_pool_forward_nhwcIdlEEvPKT_iT0_S6_S6_S6_S6_iiiiiiiiS6_S6_S6_S6_iiPS3_Pl.private_seg_size, 0
	.set _ZN2at6native12_GLOBAL__N_121max_pool_forward_nhwcIdlEEvPKT_iT0_S6_S6_S6_S6_iiiiiiiiS6_S6_S6_S6_iiPS3_Pl.uses_vcc, 1
	.set _ZN2at6native12_GLOBAL__N_121max_pool_forward_nhwcIdlEEvPKT_iT0_S6_S6_S6_S6_iiiiiiiiS6_S6_S6_S6_iiPS3_Pl.uses_flat_scratch, 0
	.set _ZN2at6native12_GLOBAL__N_121max_pool_forward_nhwcIdlEEvPKT_iT0_S6_S6_S6_S6_iiiiiiiiS6_S6_S6_S6_iiPS3_Pl.has_dyn_sized_stack, 0
	.set _ZN2at6native12_GLOBAL__N_121max_pool_forward_nhwcIdlEEvPKT_iT0_S6_S6_S6_S6_iiiiiiiiS6_S6_S6_S6_iiPS3_Pl.has_recursion, 0
	.set _ZN2at6native12_GLOBAL__N_121max_pool_forward_nhwcIdlEEvPKT_iT0_S6_S6_S6_S6_iiiiiiiiS6_S6_S6_S6_iiPS3_Pl.has_indirect_call, 0
	.section	.AMDGPU.csdata,"",@progbits
; Kernel info:
; codeLenInByte = 4708
; TotalNumSgprs: 84
; NumVgprs: 64
; ScratchSize: 0
; MemoryBound: 0
; FloatMode: 240
; IeeeMode: 1
; LDSByteSize: 0 bytes/workgroup (compile time only)
; SGPRBlocks: 10
; VGPRBlocks: 15
; NumSGPRsForWavesPerEU: 84
; NumVGPRsForWavesPerEU: 64
; Occupancy: 4
; WaveLimiterHint : 1
; COMPUTE_PGM_RSRC2:SCRATCH_EN: 0
; COMPUTE_PGM_RSRC2:USER_SGPR: 6
; COMPUTE_PGM_RSRC2:TRAP_HANDLER: 0
; COMPUTE_PGM_RSRC2:TGID_X_EN: 1
; COMPUTE_PGM_RSRC2:TGID_Y_EN: 1
; COMPUTE_PGM_RSRC2:TGID_Z_EN: 1
; COMPUTE_PGM_RSRC2:TIDIG_COMP_CNT: 2
	.section	.text._ZN2at6native12_GLOBAL__N_121max_pool_forward_nchwIdiEEvT0_PKT_llliiiiiiiiiiPS4_Pl,"axG",@progbits,_ZN2at6native12_GLOBAL__N_121max_pool_forward_nchwIdiEEvT0_PKT_llliiiiiiiiiiPS4_Pl,comdat
	.globl	_ZN2at6native12_GLOBAL__N_121max_pool_forward_nchwIdiEEvT0_PKT_llliiiiiiiiiiPS4_Pl ; -- Begin function _ZN2at6native12_GLOBAL__N_121max_pool_forward_nchwIdiEEvT0_PKT_llliiiiiiiiiiPS4_Pl
	.p2align	8
	.type	_ZN2at6native12_GLOBAL__N_121max_pool_forward_nchwIdiEEvT0_PKT_llliiiiiiiiiiPS4_Pl,@function
_ZN2at6native12_GLOBAL__N_121max_pool_forward_nchwIdiEEvT0_PKT_llliiiiiiiiiiPS4_Pl: ; @_ZN2at6native12_GLOBAL__N_121max_pool_forward_nchwIdiEEvT0_PKT_llliiiiiiiiiiPS4_Pl
; %bb.0:
	s_load_dword s24, s[4:5], 0x0
	s_load_dword s2, s[4:5], 0x6c
	v_mov_b32_e32 v1, 0
	v_mov_b32_e32 v2, s6
	s_waitcnt lgkmcnt(0)
	s_ashr_i32 s25, s24, 31
	s_add_u32 s0, s4, 0x60
	s_addc_u32 s1, s5, 0
	s_and_b32 s2, s2, 0xffff
	v_mad_u64_u32 v[0:1], s[6:7], s2, v2, v[0:1]
	v_cmp_gt_i64_e32 vcc, s[24:25], v[0:1]
	s_and_saveexec_b64 s[6:7], vcc
	s_cbranch_execz .LBB2_11
; %bb.1:
	s_load_dwordx8 s[8:15], s[4:5], 0x28
	s_load_dwordx2 s[6:7], s[4:5], 0x48
	s_load_dwordx2 s[26:27], s[4:5], 0x8
	s_load_dwordx4 s[16:19], s[4:5], 0x18
	s_load_dwordx4 s[20:23], s[4:5], 0x50
	s_load_dword s3, s[0:1], 0x0
	s_waitcnt lgkmcnt(0)
	s_abs_i32 s33, s9
	v_cvt_f32_u32_e32 v2, s33
	s_abs_i32 s50, s8
	s_max_u32 s49, s6, 1
	v_cvt_f32_u32_e32 v3, s50
	s_max_u32 s51, s7, 1
	v_cvt_f32_u32_e32 v5, s49
	v_rcp_iflag_f32_e32 v2, v2
	v_cvt_f32_u32_e32 v6, s51
	v_rcp_iflag_f32_e32 v3, v3
	v_rcp_iflag_f32_e32 v5, v5
	v_mul_f32_e32 v2, 0x4f7ffffe, v2
	v_rcp_iflag_f32_e32 v6, v6
	v_cvt_u32_f32_e32 v2, v2
	s_add_i32 s0, s10, -1
	v_mul_f32_e32 v3, 0x4f7ffffe, v3
	s_mul_i32 s46, s6, s0
	s_add_i32 s0, s11, -1
	v_cvt_u32_f32_e32 v3, v3
	v_mul_f32_e32 v5, 0x4f7ffffe, v5
	s_mul_i32 s47, s7, s0
	s_sub_i32 s0, 0, s33
	v_cvt_u32_f32_e32 v5, v5
	v_mul_f32_e32 v6, 0x4f7ffffe, v6
	v_mul_lo_u32 v4, s0, v2
	v_cvt_u32_f32_e32 v6, v6
	s_sub_i32 s0, 0, s50
	v_mul_lo_u32 v7, s0, v3
	s_sub_i32 s0, 0, s49
	v_mul_lo_u32 v8, s0, v5
	s_sub_i32 s0, 0, s51
	v_mul_hi_u32 v4, v2, v4
	v_mul_lo_u32 v9, s0, v6
	s_mul_i32 s0, s18, s17
	s_mul_hi_u32 s1, s18, s16
	s_add_i32 s0, s1, s0
	s_mul_i32 s1, s19, s16
	s_add_i32 s1, s0, s1
	s_mul_i32 s0, s18, s16
	v_add_u32_e32 v10, v2, v4
	v_mul_hi_u32 v2, v3, v7
	v_mul_hi_u32 v4, v5, v8
	;; [unrolled: 1-line block ×3, first 2 shown]
	s_lshl_b64 s[10:11], s[0:1], 3
	s_ashr_i32 s0, s6, 31
	s_mul_hi_u32 s1, s18, s6
	s_mul_i32 s0, s18, s0
	s_add_i32 s0, s1, s0
	s_mul_i32 s1, s19, s6
	s_add_i32 s29, s0, s1
	s_mul_i32 s28, s6, s18
	s_ashr_i32 s1, s7, 31
	s_mov_b32 s0, s7
	s_add_i32 s46, s46, 1
	s_add_i32 s47, s47, 1
	s_mul_i32 s48, s3, s2
	s_ashr_i32 s52, s9, 31
	s_ashr_i32 s53, s8, 31
	v_add_u32_e32 v11, v3, v2
	v_add_u32_e32 v12, v5, v4
	;; [unrolled: 1-line block ×3, first 2 shown]
	s_sub_i32 s17, 0, s15
	s_lshl_b64 s[30:31], s[28:29], 3
	s_lshl_b64 s[34:35], s[0:1], 3
	s_mov_b64 s[36:37], 0
	s_branch .LBB2_4
.LBB2_2:                                ;   in Loop: Header=BB2_4 Depth=1
	s_or_b64 exec, exec, s[40:41]
.LBB2_3:                                ;   in Loop: Header=BB2_4 Depth=1
	s_or_b64 exec, exec, s[38:39]
	v_lshlrev_b64 v[6:7], 3, v[0:1]
	v_mov_b32_e32 v3, s21
	v_add_co_u32_e32 v8, vcc, s20, v6
	v_addc_co_u32_e32 v9, vcc, v3, v7, vcc
	v_add_co_u32_e32 v0, vcc, s48, v0
	v_addc_co_u32_e32 v1, vcc, 0, v1, vcc
	v_cmp_le_i64_e32 vcc, s[24:25], v[0:1]
	global_store_dwordx2 v[8:9], v[4:5], off
	v_mov_b32_e32 v5, s23
	v_add_co_u32_e64 v4, s[0:1], s22, v6
	v_ashrrev_i32_e32 v3, 31, v2
	v_addc_co_u32_e64 v5, s[0:1], v5, v7, s[0:1]
	s_or_b64 s[36:37], vcc, s[36:37]
	global_store_dwordx2 v[4:5], v[2:3], off
	s_andn2_b64 exec, exec, s[36:37]
	s_cbranch_execz .LBB2_11
.LBB2_4:                                ; =>This Loop Header: Depth=1
                                        ;     Child Loop BB2_7 Depth 2
                                        ;       Child Loop BB2_9 Depth 3
	v_sub_u32_e32 v2, 0, v0
	v_max_i32_e32 v2, v0, v2
	v_mul_hi_u32 v3, v2, v10
	v_ashrrev_i32_e32 v5, 31, v0
	v_xor_b32_e32 v5, s52, v5
	v_mul_lo_u32 v4, v3, s33
	v_add_u32_e32 v6, 1, v3
	v_sub_u32_e32 v2, v2, v4
	v_cmp_le_u32_e32 vcc, s33, v2
	v_subrev_u32_e32 v4, s33, v2
	v_cndmask_b32_e32 v3, v3, v6, vcc
	v_cndmask_b32_e32 v2, v2, v4, vcc
	v_add_u32_e32 v4, 1, v3
	v_cmp_le_u32_e32 vcc, s33, v2
	v_cndmask_b32_e32 v2, v3, v4, vcc
	v_xor_b32_e32 v2, v2, v5
	v_sub_u32_e32 v2, v2, v5
	v_sub_u32_e32 v3, 0, v2
	v_max_i32_e32 v3, v2, v3
	v_mul_hi_u32 v4, v3, v11
	v_ashrrev_i32_e32 v6, 31, v2
	v_xor_b32_e32 v6, s53, v6
	v_mul_lo_u32 v5, v4, s50
	v_add_u32_e32 v7, 1, v4
	v_sub_u32_e32 v3, v3, v5
	v_cmp_le_u32_e32 vcc, s50, v3
	v_subrev_u32_e32 v5, s50, v3
	v_cndmask_b32_e32 v4, v4, v7, vcc
	v_cndmask_b32_e32 v3, v3, v5, vcc
	v_add_u32_e32 v5, 1, v4
	v_cmp_le_u32_e32 vcc, s50, v3
	v_cndmask_b32_e32 v3, v4, v5, vcc
	v_xor_b32_e32 v3, v3, v6
	v_sub_u32_e32 v6, v3, v6
	v_mul_lo_u32 v3, v6, s8
	v_mul_lo_u32 v4, v2, s9
	v_sub_u32_e32 v2, v2, v3
	v_mul_lo_u32 v3, v2, s12
	v_sub_u32_e32 v2, v0, v4
	v_mul_lo_u32 v8, v2, s13
	v_subrev_u32_e32 v2, s14, v3
	v_max_i32_e32 v4, 0, v2
	v_add_u32_e32 v4, s14, v4
	v_cmp_ne_u32_e32 vcc, v4, v3
	v_cndmask_b32_e64 v5, 0, 1, vcc
	v_add_u32_e32 v3, v3, v5
	v_sub_u32_e32 v3, v4, v3
	v_mul_hi_u32 v4, v3, v12
	v_subrev_u32_e32 v7, s15, v8
	v_max_i32_e32 v9, 0, v7
	v_add_u32_e32 v9, s15, v9
	v_mul_lo_u32 v5, v4, s49
	v_add_u32_e32 v14, 1, v4
	v_sub_u32_e32 v3, v3, v5
	v_cmp_le_u32_e64 s[0:1], s49, v3
	v_subrev_u32_e32 v5, s49, v3
	v_cndmask_b32_e64 v4, v4, v14, s[0:1]
	v_cndmask_b32_e64 v3, v3, v5, s[0:1]
	v_cmp_ne_u32_e64 s[0:1], v9, v8
	v_cndmask_b32_e64 v5, 0, 1, s[0:1]
	v_add_u32_e32 v5, v8, v5
	v_sub_u32_e32 v5, v9, v5
	v_mul_hi_u32 v9, v5, v13
	v_add_u32_e32 v14, 1, v4
	v_cmp_le_u32_e64 s[2:3], s49, v3
	v_cndmask_b32_e64 v3, v4, v14, s[2:3]
	v_mul_lo_u32 v14, v9, s51
	v_addc_co_u32_e32 v3, vcc, 0, v3, vcc
	v_mad_u64_u32 v[3:4], s[2:3], s6, v3, v[2:3]
	v_sub_u32_e32 v4, v5, v14
	v_add_u32_e32 v5, 1, v9
	v_cmp_le_u32_e32 vcc, s51, v4
	v_cndmask_b32_e32 v5, v9, v5, vcc
	v_subrev_u32_e32 v9, s51, v4
	v_cndmask_b32_e32 v4, v4, v9, vcc
	v_add_u32_e32 v9, 1, v5
	v_cmp_le_u32_e32 vcc, s51, v4
	v_cndmask_b32_e32 v4, v5, v9, vcc
	v_addc_co_u32_e64 v4, vcc, 0, v4, s[0:1]
	v_mul_lo_u32 v9, s7, v4
	v_mul_lo_u32 v14, v3, s18
	v_add_u32_e32 v2, s46, v2
	v_min_i32_e32 v15, s16, v2
	v_add_u32_e32 v16, v7, v9
	v_mov_b32_e32 v4, 0
	v_add_u32_e32 v2, v16, v14
	v_mov_b32_e32 v5, 0xfff00000
	v_cmp_lt_i32_e32 vcc, v3, v15
	s_and_saveexec_b64 s[38:39], vcc
	s_cbranch_execz .LBB2_3
; %bb.5:                                ;   in Loop: Header=BB2_4 Depth=1
	v_add3_u32 v4, s17, v9, v8
	v_ashrrev_i32_e32 v17, 31, v3
	v_ashrrev_i32_e32 v5, 31, v4
	v_mad_u64_u32 v[4:5], s[0:1], s18, v3, v[4:5]
	v_mul_lo_u32 v8, s19, v3
	v_mul_lo_u32 v9, s18, v17
	v_ashrrev_i32_e32 v17, 31, v6
	v_add_u32_e32 v7, s47, v7
	s_mov_b64 s[40:41], 0
	v_add3_u32 v5, v8, v5, v9
	v_lshlrev_b64 v[4:5], 3, v[4:5]
	v_mul_lo_u32 v8, s10, v17
	v_mad_u64_u32 v[4:5], s[0:1], s10, v6, v[4:5]
	v_mul_lo_u32 v6, s11, v6
	v_min_i32_e32 v17, s18, v7
	v_mov_b32_e32 v7, s27
	v_cmp_lt_i32_e32 vcc, v16, v17
	v_add3_u32 v5, v6, v5, v8
	v_add_co_u32_e64 v6, s[0:1], s26, v4
	v_addc_co_u32_e64 v7, s[0:1], v7, v5, s[0:1]
	v_mov_b32_e32 v4, 0
	v_mov_b32_e32 v5, 0xfff00000
	s_branch .LBB2_7
.LBB2_6:                                ;   in Loop: Header=BB2_7 Depth=2
	s_or_b64 exec, exec, s[42:43]
	v_mov_b32_e32 v8, s31
	v_add_co_u32_e64 v6, s[0:1], s30, v6
	v_add_u32_e32 v3, s6, v3
	v_addc_co_u32_e64 v7, s[0:1], v7, v8, s[0:1]
	v_cmp_ge_i32_e64 s[0:1], v3, v15
	s_or_b64 s[40:41], s[0:1], s[40:41]
	v_add_u32_e32 v14, s28, v14
	s_andn2_b64 exec, exec, s[40:41]
	s_cbranch_execz .LBB2_2
.LBB2_7:                                ;   Parent Loop BB2_4 Depth=1
                                        ; =>  This Loop Header: Depth=2
                                        ;       Child Loop BB2_9 Depth 3
	s_and_saveexec_b64 s[42:43], vcc
	s_cbranch_execz .LBB2_6
; %bb.8:                                ;   in Loop: Header=BB2_7 Depth=2
	v_mov_b32_e32 v9, v7
	s_mov_b64 s[44:45], 0
	v_mov_b32_e32 v8, v6
	v_mov_b32_e32 v18, v16
.LBB2_9:                                ;   Parent Loop BB2_4 Depth=1
                                        ;     Parent Loop BB2_7 Depth=2
                                        ; =>    This Inner Loop Header: Depth=3
	global_load_dwordx2 v[19:20], v[8:9], off
	v_mov_b32_e32 v22, s35
	v_add_co_u32_e64 v8, s[4:5], s34, v8
	v_add_u32_e32 v21, v14, v18
	v_add_u32_e32 v18, s7, v18
	v_addc_co_u32_e64 v9, s[4:5], v9, v22, s[4:5]
	v_cmp_ge_i32_e64 s[4:5], v18, v17
	s_waitcnt vmcnt(0)
	v_cmp_gt_f64_e64 s[0:1], v[19:20], v[4:5]
	v_cmp_u_f64_e64 s[2:3], v[19:20], v[19:20]
	s_or_b64 s[0:1], s[0:1], s[2:3]
	v_cndmask_b32_e64 v5, v5, v20, s[0:1]
	v_cndmask_b32_e64 v4, v4, v19, s[0:1]
	s_or_b64 s[44:45], s[4:5], s[44:45]
	v_cndmask_b32_e64 v2, v2, v21, s[0:1]
	s_andn2_b64 exec, exec, s[44:45]
	s_cbranch_execnz .LBB2_9
; %bb.10:                               ;   in Loop: Header=BB2_7 Depth=2
	s_or_b64 exec, exec, s[44:45]
	s_branch .LBB2_6
.LBB2_11:
	s_endpgm
	.section	.rodata,"a",@progbits
	.p2align	6, 0x0
	.amdhsa_kernel _ZN2at6native12_GLOBAL__N_121max_pool_forward_nchwIdiEEvT0_PKT_llliiiiiiiiiiPS4_Pl
		.amdhsa_group_segment_fixed_size 0
		.amdhsa_private_segment_fixed_size 0
		.amdhsa_kernarg_size 352
		.amdhsa_user_sgpr_count 6
		.amdhsa_user_sgpr_private_segment_buffer 1
		.amdhsa_user_sgpr_dispatch_ptr 0
		.amdhsa_user_sgpr_queue_ptr 0
		.amdhsa_user_sgpr_kernarg_segment_ptr 1
		.amdhsa_user_sgpr_dispatch_id 0
		.amdhsa_user_sgpr_flat_scratch_init 0
		.amdhsa_user_sgpr_private_segment_size 0
		.amdhsa_uses_dynamic_stack 0
		.amdhsa_system_sgpr_private_segment_wavefront_offset 0
		.amdhsa_system_sgpr_workgroup_id_x 1
		.amdhsa_system_sgpr_workgroup_id_y 0
		.amdhsa_system_sgpr_workgroup_id_z 0
		.amdhsa_system_sgpr_workgroup_info 0
		.amdhsa_system_vgpr_workitem_id 0
		.amdhsa_next_free_vgpr 23
		.amdhsa_next_free_sgpr 54
		.amdhsa_reserve_vcc 1
		.amdhsa_reserve_flat_scratch 0
		.amdhsa_float_round_mode_32 0
		.amdhsa_float_round_mode_16_64 0
		.amdhsa_float_denorm_mode_32 3
		.amdhsa_float_denorm_mode_16_64 3
		.amdhsa_dx10_clamp 1
		.amdhsa_ieee_mode 1
		.amdhsa_fp16_overflow 0
		.amdhsa_exception_fp_ieee_invalid_op 0
		.amdhsa_exception_fp_denorm_src 0
		.amdhsa_exception_fp_ieee_div_zero 0
		.amdhsa_exception_fp_ieee_overflow 0
		.amdhsa_exception_fp_ieee_underflow 0
		.amdhsa_exception_fp_ieee_inexact 0
		.amdhsa_exception_int_div_zero 0
	.end_amdhsa_kernel
	.section	.text._ZN2at6native12_GLOBAL__N_121max_pool_forward_nchwIdiEEvT0_PKT_llliiiiiiiiiiPS4_Pl,"axG",@progbits,_ZN2at6native12_GLOBAL__N_121max_pool_forward_nchwIdiEEvT0_PKT_llliiiiiiiiiiPS4_Pl,comdat
.Lfunc_end2:
	.size	_ZN2at6native12_GLOBAL__N_121max_pool_forward_nchwIdiEEvT0_PKT_llliiiiiiiiiiPS4_Pl, .Lfunc_end2-_ZN2at6native12_GLOBAL__N_121max_pool_forward_nchwIdiEEvT0_PKT_llliiiiiiiiiiPS4_Pl
                                        ; -- End function
	.set _ZN2at6native12_GLOBAL__N_121max_pool_forward_nchwIdiEEvT0_PKT_llliiiiiiiiiiPS4_Pl.num_vgpr, 23
	.set _ZN2at6native12_GLOBAL__N_121max_pool_forward_nchwIdiEEvT0_PKT_llliiiiiiiiiiPS4_Pl.num_agpr, 0
	.set _ZN2at6native12_GLOBAL__N_121max_pool_forward_nchwIdiEEvT0_PKT_llliiiiiiiiiiPS4_Pl.numbered_sgpr, 54
	.set _ZN2at6native12_GLOBAL__N_121max_pool_forward_nchwIdiEEvT0_PKT_llliiiiiiiiiiPS4_Pl.num_named_barrier, 0
	.set _ZN2at6native12_GLOBAL__N_121max_pool_forward_nchwIdiEEvT0_PKT_llliiiiiiiiiiPS4_Pl.private_seg_size, 0
	.set _ZN2at6native12_GLOBAL__N_121max_pool_forward_nchwIdiEEvT0_PKT_llliiiiiiiiiiPS4_Pl.uses_vcc, 1
	.set _ZN2at6native12_GLOBAL__N_121max_pool_forward_nchwIdiEEvT0_PKT_llliiiiiiiiiiPS4_Pl.uses_flat_scratch, 0
	.set _ZN2at6native12_GLOBAL__N_121max_pool_forward_nchwIdiEEvT0_PKT_llliiiiiiiiiiPS4_Pl.has_dyn_sized_stack, 0
	.set _ZN2at6native12_GLOBAL__N_121max_pool_forward_nchwIdiEEvT0_PKT_llliiiiiiiiiiPS4_Pl.has_recursion, 0
	.set _ZN2at6native12_GLOBAL__N_121max_pool_forward_nchwIdiEEvT0_PKT_llliiiiiiiiiiPS4_Pl.has_indirect_call, 0
	.section	.AMDGPU.csdata,"",@progbits
; Kernel info:
; codeLenInByte = 1324
; TotalNumSgprs: 58
; NumVgprs: 23
; ScratchSize: 0
; MemoryBound: 0
; FloatMode: 240
; IeeeMode: 1
; LDSByteSize: 0 bytes/workgroup (compile time only)
; SGPRBlocks: 7
; VGPRBlocks: 5
; NumSGPRsForWavesPerEU: 58
; NumVGPRsForWavesPerEU: 23
; Occupancy: 10
; WaveLimiterHint : 0
; COMPUTE_PGM_RSRC2:SCRATCH_EN: 0
; COMPUTE_PGM_RSRC2:USER_SGPR: 6
; COMPUTE_PGM_RSRC2:TRAP_HANDLER: 0
; COMPUTE_PGM_RSRC2:TGID_X_EN: 1
; COMPUTE_PGM_RSRC2:TGID_Y_EN: 0
; COMPUTE_PGM_RSRC2:TGID_Z_EN: 0
; COMPUTE_PGM_RSRC2:TIDIG_COMP_CNT: 0
	.section	.text._ZN2at6native12_GLOBAL__N_121max_pool_forward_nchwIdlEEvT0_PKT_llliiiiiiiiiiPS4_Pl,"axG",@progbits,_ZN2at6native12_GLOBAL__N_121max_pool_forward_nchwIdlEEvT0_PKT_llliiiiiiiiiiPS4_Pl,comdat
	.globl	_ZN2at6native12_GLOBAL__N_121max_pool_forward_nchwIdlEEvT0_PKT_llliiiiiiiiiiPS4_Pl ; -- Begin function _ZN2at6native12_GLOBAL__N_121max_pool_forward_nchwIdlEEvT0_PKT_llliiiiiiiiiiPS4_Pl
	.p2align	8
	.type	_ZN2at6native12_GLOBAL__N_121max_pool_forward_nchwIdlEEvT0_PKT_llliiiiiiiiiiPS4_Pl,@function
_ZN2at6native12_GLOBAL__N_121max_pool_forward_nchwIdlEEvT0_PKT_llliiiiiiiiiiPS4_Pl: ; @_ZN2at6native12_GLOBAL__N_121max_pool_forward_nchwIdlEEvT0_PKT_llliiiiiiiiiiPS4_Pl
; %bb.0:
	s_load_dword s2, s[4:5], 0x6c
	s_load_dwordx4 s[16:19], s[4:5], 0x0
	s_add_u32 s0, s4, 0x60
	v_mov_b32_e32 v2, 0
	s_addc_u32 s1, s5, 0
	s_waitcnt lgkmcnt(0)
	s_and_b32 s2, s2, 0xffff
	v_mov_b32_e32 v1, v2
	v_mov_b32_e32 v3, s6
	v_mad_u64_u32 v[0:1], s[6:7], s2, v3, v[0:1]
	v_cmp_gt_i64_e32 vcc, s[16:17], v[0:1]
	s_and_saveexec_b64 s[6:7], vcc
	s_cbranch_execz .LBB3_27
; %bb.1:
	s_load_dwordx8 s[8:15], s[4:5], 0x28
	s_load_dwordx4 s[20:23], s[4:5], 0x18
	s_load_dwordx2 s[6:7], s[4:5], 0x48
	s_load_dwordx4 s[24:27], s[4:5], 0x50
	s_load_dword s3, s[0:1], 0x0
	s_waitcnt lgkmcnt(0)
	s_add_i32 s0, s10, -1
	s_ashr_i32 s33, s9, 31
	s_mul_i32 s53, s6, s0
	s_add_i32 s0, s11, -1
	s_ashr_i32 s11, s6, 31
	s_mov_b32 s10, s6
	s_mul_i32 s54, s7, s0
	v_cmp_gt_u64_e64 s[0:1], s[10:11], 1
	s_ashr_i32 s44, s8, 31
	s_ashr_i32 s45, s12, 31
	;; [unrolled: 1-line block ×4, first 2 shown]
	s_mov_b32 s50, s13
	s_ashr_i32 s51, s15, 31
	s_add_i32 s53, s53, 1
	s_add_i32 s54, s54, 1
	s_ashr_i32 s13, s7, 31
	s_mov_b32 s46, s12
	s_mov_b32 s12, s7
	s_and_b64 s[0:1], s[0:1], exec
	v_cmp_gt_u64_e64 s[0:1], s[12:13], 1
	s_cselect_b32 s56, s11, 0
	s_cselect_b32 s57, s6, 1
	s_and_b64 s[0:1], s[0:1], exec
	s_mul_i32 s0, s22, s21
	s_mul_hi_u32 s1, s22, s20
	s_cselect_b32 s58, s13, 0
	s_cselect_b32 s59, s7, 1
	s_add_i32 s0, s1, s0
	s_mul_i32 s1, s23, s20
	s_add_i32 s1, s0, s1
	s_mul_i32 s0, s22, s20
	s_mov_b32 s48, s14
	s_mov_b32 s52, s15
	s_mul_i32 s55, s3, s2
	s_lshl_b64 s[14:15], s[0:1], 3
	s_lshl_b64 s[28:29], s[12:13], 3
	s_mov_b64 s[30:31], 0
	s_ashr_i32 s34, s33, 31
	s_branch .LBB3_4
.LBB3_2:                                ;   in Loop: Header=BB3_4 Depth=1
	s_or_b64 exec, exec, s[38:39]
.LBB3_3:                                ;   in Loop: Header=BB3_4 Depth=1
	s_or_b64 exec, exec, s[36:37]
	v_lshlrev_b64 v[3:4], 3, v[0:1]
	v_mov_b32_e32 v6, s25
	v_add_co_u32_e32 v5, vcc, s24, v3
	v_addc_co_u32_e32 v6, vcc, v6, v4, vcc
	v_add_co_u32_e32 v0, vcc, s55, v0
	v_addc_co_u32_e32 v1, vcc, 0, v1, vcc
	v_cmp_le_i64_e32 vcc, s[16:17], v[0:1]
	global_store_dwordx2 v[5:6], v[7:8], off
	v_mov_b32_e32 v5, s27
	v_add_co_u32_e64 v3, s[0:1], s26, v3
	v_addc_co_u32_e64 v4, s[0:1], v5, v4, s[0:1]
	s_or_b64 s[30:31], vcc, s[30:31]
	global_store_dwordx2 v[3:4], v[9:10], off
	s_andn2_b64 exec, exec, s[30:31]
	s_cbranch_execz .LBB3_27
.LBB3_4:                                ; =>This Loop Header: Depth=1
                                        ;     Child Loop BB3_23 Depth 2
                                        ;       Child Loop BB3_25 Depth 3
	v_or_b32_e32 v3, s33, v1
	v_cmp_ne_u64_e32 vcc, 0, v[2:3]
                                        ; implicit-def: $vgpr6_vgpr7
	s_and_saveexec_b64 s[0:1], vcc
	s_xor_b64 s[2:3], exec, s[0:1]
	s_cbranch_execz .LBB3_6
; %bb.5:                                ;   in Loop: Header=BB3_4 Depth=1
	s_add_u32 s0, s9, s34
	s_mov_b32 s35, s34
	s_addc_u32 s1, s33, s34
	s_xor_b64 s[4:5], s[0:1], s[34:35]
	v_cvt_f32_u32_e32 v3, s4
	v_cvt_f32_u32_e32 v4, s5
	s_sub_u32 s21, 0, s4
	s_subb_u32 s35, 0, s5
	v_ashrrev_i32_e32 v7, 31, v1
	v_mac_f32_e32 v3, 0x4f800000, v4
	v_rcp_f32_e32 v3, v3
	v_mul_f32_e32 v3, 0x5f7ffffc, v3
	v_mul_f32_e32 v4, 0x2f800000, v3
	v_trunc_f32_e32 v4, v4
	v_mac_f32_e32 v3, 0xcf800000, v4
	v_cvt_u32_f32_e32 v4, v4
	v_cvt_u32_f32_e32 v3, v3
	v_readfirstlane_b32 s36, v4
	v_readfirstlane_b32 s0, v3
	s_mul_i32 s1, s21, s36
	s_mul_hi_u32 s38, s21, s0
	s_mul_i32 s37, s35, s0
	s_add_i32 s1, s38, s1
	s_add_i32 s1, s1, s37
	s_mul_i32 s39, s21, s0
	s_mul_i32 s38, s0, s1
	s_mul_hi_u32 s40, s0, s39
	s_mul_hi_u32 s37, s0, s1
	s_add_u32 s38, s40, s38
	s_addc_u32 s37, 0, s37
	s_mul_hi_u32 s41, s36, s39
	s_mul_i32 s39, s36, s39
	s_add_u32 s38, s38, s39
	s_mul_hi_u32 s40, s36, s1
	s_addc_u32 s37, s37, s41
	s_addc_u32 s38, s40, 0
	s_mul_i32 s1, s36, s1
	s_add_u32 s1, s37, s1
	s_addc_u32 s37, 0, s38
	s_add_u32 s38, s0, s1
	s_cselect_b64 s[0:1], -1, 0
	s_cmp_lg_u64 s[0:1], 0
	s_addc_u32 s36, s36, s37
	s_mul_i32 s0, s21, s36
	s_mul_hi_u32 s1, s21, s38
	s_add_i32 s0, s1, s0
	s_mul_i32 s35, s35, s38
	s_add_i32 s0, s0, s35
	s_mul_i32 s21, s21, s38
	s_mul_hi_u32 s35, s36, s21
	s_mul_i32 s37, s36, s21
	s_mul_i32 s40, s38, s0
	s_mul_hi_u32 s21, s38, s21
	s_mul_hi_u32 s39, s38, s0
	s_add_u32 s21, s21, s40
	s_addc_u32 s39, 0, s39
	s_add_u32 s21, s21, s37
	s_mul_hi_u32 s1, s36, s0
	s_addc_u32 s21, s39, s35
	s_addc_u32 s1, s1, 0
	s_mul_i32 s0, s36, s0
	s_add_u32 s0, s21, s0
	s_addc_u32 s21, 0, s1
	s_add_u32 s35, s38, s0
	s_cselect_b64 s[0:1], -1, 0
	s_cmp_lg_u64 s[0:1], 0
	v_add_co_u32_e32 v3, vcc, v0, v7
	s_addc_u32 s21, s36, s21
	v_xor_b32_e32 v8, v3, v7
	v_mad_u64_u32 v[3:4], s[0:1], v8, s21, 0
	v_mul_hi_u32 v6, v8, s35
	v_addc_co_u32_e32 v5, vcc, v1, v7, vcc
	v_xor_b32_e32 v9, v5, v7
	v_add_co_u32_e32 v10, vcc, v6, v3
	v_addc_co_u32_e32 v11, vcc, 0, v4, vcc
	v_mad_u64_u32 v[3:4], s[0:1], v9, s35, 0
	v_mad_u64_u32 v[5:6], s[0:1], v9, s21, 0
	v_add_co_u32_e32 v3, vcc, v10, v3
	v_addc_co_u32_e32 v3, vcc, v11, v4, vcc
	v_addc_co_u32_e32 v4, vcc, 0, v6, vcc
	v_add_co_u32_e32 v5, vcc, v3, v5
	v_addc_co_u32_e32 v6, vcc, 0, v4, vcc
	v_mul_lo_u32 v10, s5, v5
	v_mul_lo_u32 v11, s4, v6
	v_mad_u64_u32 v[3:4], s[0:1], s4, v5, 0
	v_add3_u32 v4, v4, v11, v10
	v_sub_u32_e32 v10, v9, v4
	v_mov_b32_e32 v11, s5
	v_sub_co_u32_e32 v3, vcc, v8, v3
	v_subb_co_u32_e64 v8, s[0:1], v10, v11, vcc
	v_subrev_co_u32_e64 v10, s[0:1], s4, v3
	v_subbrev_co_u32_e64 v8, s[0:1], 0, v8, s[0:1]
	v_cmp_le_u32_e64 s[0:1], s5, v8
	v_cndmask_b32_e64 v11, 0, -1, s[0:1]
	v_cmp_le_u32_e64 s[0:1], s4, v10
	v_cndmask_b32_e64 v10, 0, -1, s[0:1]
	v_cmp_eq_u32_e64 s[0:1], s5, v8
	v_cndmask_b32_e64 v8, v11, v10, s[0:1]
	v_add_co_u32_e64 v10, s[0:1], 2, v5
	v_subb_co_u32_e32 v4, vcc, v9, v4, vcc
	v_addc_co_u32_e64 v11, s[0:1], 0, v6, s[0:1]
	v_cmp_le_u32_e32 vcc, s5, v4
	v_add_co_u32_e64 v12, s[0:1], 1, v5
	v_cndmask_b32_e64 v9, 0, -1, vcc
	v_cmp_le_u32_e32 vcc, s4, v3
	v_addc_co_u32_e64 v13, s[0:1], 0, v6, s[0:1]
	v_cndmask_b32_e64 v3, 0, -1, vcc
	v_cmp_eq_u32_e32 vcc, s5, v4
	v_cmp_ne_u32_e64 s[0:1], 0, v8
	v_cndmask_b32_e32 v3, v9, v3, vcc
	v_cmp_ne_u32_e32 vcc, 0, v3
	v_cndmask_b32_e64 v4, v12, v10, s[0:1]
	v_cndmask_b32_e64 v8, v13, v11, s[0:1]
	v_cndmask_b32_e32 v4, v5, v4, vcc
	v_xor_b32_e32 v5, s34, v7
	v_cndmask_b32_e32 v3, v6, v8, vcc
	v_xor_b32_e32 v4, v4, v5
	v_xor_b32_e32 v3, v3, v5
	v_sub_co_u32_e32 v6, vcc, v4, v5
	v_subb_co_u32_e32 v7, vcc, v3, v5, vcc
.LBB3_6:                                ;   in Loop: Header=BB3_4 Depth=1
	s_andn2_saveexec_b64 s[0:1], s[2:3]
	s_cbranch_execz .LBB3_8
; %bb.7:                                ;   in Loop: Header=BB3_4 Depth=1
	v_cvt_f32_u32_e32 v3, s9
	s_sub_i32 s2, 0, s9
	v_mov_b32_e32 v7, v2
	v_rcp_iflag_f32_e32 v3, v3
	v_mul_f32_e32 v3, 0x4f7ffffe, v3
	v_cvt_u32_f32_e32 v3, v3
	v_mul_lo_u32 v4, s2, v3
	v_mul_hi_u32 v4, v3, v4
	v_add_u32_e32 v3, v3, v4
	v_mul_hi_u32 v3, v0, v3
	v_mul_lo_u32 v4, v3, s9
	v_add_u32_e32 v5, 1, v3
	v_sub_u32_e32 v4, v0, v4
	v_subrev_u32_e32 v6, s9, v4
	v_cmp_le_u32_e32 vcc, s9, v4
	v_cndmask_b32_e32 v4, v4, v6, vcc
	v_cndmask_b32_e32 v3, v3, v5, vcc
	v_add_u32_e32 v5, 1, v3
	v_cmp_le_u32_e32 vcc, s9, v4
	v_cndmask_b32_e32 v6, v3, v5, vcc
.LBB3_8:                                ;   in Loop: Header=BB3_4 Depth=1
	s_or_b64 exec, exec, s[0:1]
	v_or_b32_e32 v3, s44, v7
	v_cmp_ne_u64_e32 vcc, 0, v[2:3]
                                        ; implicit-def: $vgpr4_vgpr5
	s_and_saveexec_b64 s[0:1], vcc
	s_xor_b64 s[2:3], exec, s[0:1]
	s_cbranch_execz .LBB3_10
; %bb.9:                                ;   in Loop: Header=BB3_4 Depth=1
	s_ashr_i32 s4, s44, 31
	s_add_u32 s0, s8, s4
	s_mov_b32 s5, s4
	s_addc_u32 s1, s44, s4
	s_xor_b64 s[36:37], s[0:1], s[4:5]
	v_cvt_f32_u32_e32 v3, s36
	v_cvt_f32_u32_e32 v4, s37
	s_sub_u32 s5, 0, s36
	s_subb_u32 s21, 0, s37
	v_ashrrev_i32_e32 v5, 31, v7
	v_mac_f32_e32 v3, 0x4f800000, v4
	v_rcp_f32_e32 v3, v3
	v_mul_f32_e32 v3, 0x5f7ffffc, v3
	v_mul_f32_e32 v4, 0x2f800000, v3
	v_trunc_f32_e32 v4, v4
	v_mac_f32_e32 v3, 0xcf800000, v4
	v_cvt_u32_f32_e32 v4, v4
	v_cvt_u32_f32_e32 v3, v3
	v_readfirstlane_b32 s35, v4
	v_readfirstlane_b32 s0, v3
	s_mul_i32 s1, s5, s35
	s_mul_hi_u32 s39, s5, s0
	s_mul_i32 s38, s21, s0
	s_add_i32 s1, s39, s1
	s_add_i32 s1, s1, s38
	s_mul_i32 s40, s5, s0
	s_mul_i32 s39, s0, s1
	s_mul_hi_u32 s41, s0, s40
	s_mul_hi_u32 s38, s0, s1
	s_add_u32 s39, s41, s39
	s_addc_u32 s38, 0, s38
	s_mul_hi_u32 s42, s35, s40
	s_mul_i32 s40, s35, s40
	s_add_u32 s39, s39, s40
	s_mul_hi_u32 s41, s35, s1
	s_addc_u32 s38, s38, s42
	s_addc_u32 s39, s41, 0
	s_mul_i32 s1, s35, s1
	s_add_u32 s1, s38, s1
	s_addc_u32 s38, 0, s39
	s_add_u32 s39, s0, s1
	s_cselect_b64 s[0:1], -1, 0
	s_cmp_lg_u64 s[0:1], 0
	s_addc_u32 s35, s35, s38
	s_mul_i32 s0, s5, s35
	s_mul_hi_u32 s1, s5, s39
	s_add_i32 s0, s1, s0
	s_mul_i32 s21, s21, s39
	s_add_i32 s0, s0, s21
	s_mul_i32 s5, s5, s39
	s_mul_hi_u32 s21, s35, s5
	s_mul_i32 s38, s35, s5
	s_mul_i32 s41, s39, s0
	s_mul_hi_u32 s5, s39, s5
	s_mul_hi_u32 s40, s39, s0
	s_add_u32 s5, s5, s41
	s_addc_u32 s40, 0, s40
	s_add_u32 s5, s5, s38
	s_mul_hi_u32 s1, s35, s0
	s_addc_u32 s5, s40, s21
	s_addc_u32 s1, s1, 0
	s_mul_i32 s0, s35, s0
	s_add_u32 s0, s5, s0
	s_addc_u32 s5, 0, s1
	s_add_u32 s21, s39, s0
	s_cselect_b64 s[0:1], -1, 0
	s_cmp_lg_u64 s[0:1], 0
	v_add_co_u32_e32 v3, vcc, v6, v5
	s_addc_u32 s5, s35, s5
	v_xor_b32_e32 v10, v3, v5
	v_mad_u64_u32 v[3:4], s[0:1], v10, s5, 0
	v_mul_hi_u32 v9, v10, s21
	v_addc_co_u32_e32 v8, vcc, v7, v5, vcc
	v_xor_b32_e32 v11, v8, v5
	v_add_co_u32_e32 v12, vcc, v9, v3
	v_addc_co_u32_e32 v13, vcc, 0, v4, vcc
	v_mad_u64_u32 v[3:4], s[0:1], v11, s21, 0
	v_mad_u64_u32 v[8:9], s[0:1], v11, s5, 0
	v_add_co_u32_e32 v3, vcc, v12, v3
	v_addc_co_u32_e32 v3, vcc, v13, v4, vcc
	v_addc_co_u32_e32 v4, vcc, 0, v9, vcc
	v_add_co_u32_e32 v8, vcc, v3, v8
	v_addc_co_u32_e32 v9, vcc, 0, v4, vcc
	v_mul_lo_u32 v12, s37, v8
	v_mul_lo_u32 v13, s36, v9
	v_mad_u64_u32 v[3:4], s[0:1], s36, v8, 0
	v_xor_b32_e32 v5, s4, v5
	v_add3_u32 v4, v4, v13, v12
	v_sub_u32_e32 v12, v11, v4
	v_mov_b32_e32 v13, s37
	v_sub_co_u32_e32 v3, vcc, v10, v3
	v_subb_co_u32_e64 v10, s[0:1], v12, v13, vcc
	v_subrev_co_u32_e64 v12, s[0:1], s36, v3
	v_subbrev_co_u32_e64 v10, s[0:1], 0, v10, s[0:1]
	v_cmp_le_u32_e64 s[0:1], s37, v10
	v_cndmask_b32_e64 v13, 0, -1, s[0:1]
	v_cmp_le_u32_e64 s[0:1], s36, v12
	v_cndmask_b32_e64 v12, 0, -1, s[0:1]
	v_cmp_eq_u32_e64 s[0:1], s37, v10
	v_cndmask_b32_e64 v10, v13, v12, s[0:1]
	v_add_co_u32_e64 v12, s[0:1], 2, v8
	v_subb_co_u32_e32 v4, vcc, v11, v4, vcc
	v_addc_co_u32_e64 v13, s[0:1], 0, v9, s[0:1]
	v_cmp_le_u32_e32 vcc, s37, v4
	v_add_co_u32_e64 v14, s[0:1], 1, v8
	v_cndmask_b32_e64 v11, 0, -1, vcc
	v_cmp_le_u32_e32 vcc, s36, v3
	v_addc_co_u32_e64 v15, s[0:1], 0, v9, s[0:1]
	v_cndmask_b32_e64 v3, 0, -1, vcc
	v_cmp_eq_u32_e32 vcc, s37, v4
	v_cmp_ne_u32_e64 s[0:1], 0, v10
	v_cndmask_b32_e32 v3, v11, v3, vcc
	v_cmp_ne_u32_e32 vcc, 0, v3
	v_cndmask_b32_e64 v4, v14, v12, s[0:1]
	v_cndmask_b32_e64 v10, v15, v13, s[0:1]
	v_cndmask_b32_e32 v4, v8, v4, vcc
	v_cndmask_b32_e32 v3, v9, v10, vcc
	v_xor_b32_e32 v4, v4, v5
	v_xor_b32_e32 v3, v3, v5
	v_sub_co_u32_e32 v4, vcc, v4, v5
	v_subb_co_u32_e32 v5, vcc, v3, v5, vcc
.LBB3_10:                               ;   in Loop: Header=BB3_4 Depth=1
	s_andn2_saveexec_b64 s[0:1], s[2:3]
	s_cbranch_execz .LBB3_12
; %bb.11:                               ;   in Loop: Header=BB3_4 Depth=1
	v_cvt_f32_u32_e32 v3, s8
	s_sub_i32 s2, 0, s8
	v_rcp_iflag_f32_e32 v3, v3
	v_mul_f32_e32 v3, 0x4f7ffffe, v3
	v_cvt_u32_f32_e32 v3, v3
	v_mul_lo_u32 v4, s2, v3
	v_mul_hi_u32 v4, v3, v4
	v_add_u32_e32 v3, v3, v4
	v_mul_hi_u32 v3, v6, v3
	v_mul_lo_u32 v4, v3, s8
	v_add_u32_e32 v5, 1, v3
	v_sub_u32_e32 v4, v6, v4
	v_subrev_u32_e32 v8, s8, v4
	v_cmp_le_u32_e32 vcc, s8, v4
	v_cndmask_b32_e32 v4, v4, v8, vcc
	v_cndmask_b32_e32 v3, v3, v5, vcc
	v_add_u32_e32 v5, 1, v3
	v_cmp_le_u32_e32 vcc, s8, v4
	v_cndmask_b32_e32 v4, v3, v5, vcc
	v_mov_b32_e32 v5, v2
.LBB3_12:                               ;   in Loop: Header=BB3_4 Depth=1
	s_or_b64 exec, exec, s[0:1]
	v_mul_lo_u32 v3, v5, s8
	v_mul_lo_u32 v10, v4, s44
	v_mad_u64_u32 v[8:9], s[0:1], v4, s8, 0
	v_add3_u32 v3, v9, v10, v3
	v_sub_co_u32_e32 v8, vcc, v6, v8
	v_subb_co_u32_e32 v3, vcc, v7, v3, vcc
	v_mul_lo_u32 v3, v3, s46
	v_mul_lo_u32 v9, v8, s45
	v_mad_u64_u32 v[10:11], s[0:1], v8, s46, 0
	v_add3_u32 v11, v11, v9, v3
	v_mov_b32_e32 v3, s47
	v_subrev_co_u32_e32 v8, vcc, s48, v10
	v_subb_co_u32_e32 v9, vcc, v11, v3, vcc
	v_cmp_lt_i64_e32 vcc, 0, v[8:9]
	v_cndmask_b32_e32 v13, 0, v8, vcc
	v_cndmask_b32_e32 v12, 0, v9, vcc
	v_add_co_u32_e32 v13, vcc, s48, v13
	v_addc_co_u32_e32 v14, vcc, v12, v3, vcc
	v_cmp_ne_u64_e32 vcc, v[13:14], v[10:11]
	v_cndmask_b32_e64 v12, 0, 1, vcc
	v_add_co_u32_e32 v3, vcc, v10, v12
	v_addc_co_u32_e32 v10, vcc, 0, v11, vcc
	v_sub_co_u32_e32 v13, vcc, v13, v3
	v_subb_co_u32_e32 v14, vcc, v14, v10, vcc
	v_or_b32_e32 v3, s56, v14
	v_cmp_ne_u64_e32 vcc, 0, v[2:3]
                                        ; implicit-def: $vgpr10_vgpr11
	s_and_saveexec_b64 s[0:1], vcc
	s_xor_b64 s[2:3], exec, s[0:1]
	s_cbranch_execz .LBB3_14
; %bb.13:                               ;   in Loop: Header=BB3_4 Depth=1
	v_cvt_f32_u32_e32 v3, s57
	v_cvt_f32_u32_e32 v10, s56
	s_sub_u32 s4, 0, s57
	s_subb_u32 s5, 0, s56
	v_mac_f32_e32 v3, 0x4f800000, v10
	v_rcp_f32_e32 v3, v3
	v_mul_f32_e32 v3, 0x5f7ffffc, v3
	v_mul_f32_e32 v10, 0x2f800000, v3
	v_trunc_f32_e32 v10, v10
	v_mac_f32_e32 v3, 0xcf800000, v10
	v_cvt_u32_f32_e32 v10, v10
	v_cvt_u32_f32_e32 v3, v3
	v_readfirstlane_b32 s21, v10
	v_readfirstlane_b32 s0, v3
	s_mul_i32 s1, s4, s21
	s_mul_hi_u32 s36, s4, s0
	s_mul_i32 s35, s5, s0
	s_add_i32 s1, s36, s1
	s_mul_i32 s37, s4, s0
	s_add_i32 s1, s1, s35
	s_mul_i32 s36, s0, s1
	s_mul_hi_u32 s38, s0, s37
	s_mul_hi_u32 s35, s0, s1
	s_add_u32 s36, s38, s36
	s_addc_u32 s35, 0, s35
	s_mul_hi_u32 s39, s21, s37
	s_mul_i32 s37, s21, s37
	s_add_u32 s36, s36, s37
	s_mul_hi_u32 s38, s21, s1
	s_addc_u32 s35, s35, s39
	s_addc_u32 s36, s38, 0
	s_mul_i32 s1, s21, s1
	s_add_u32 s1, s35, s1
	s_addc_u32 s35, 0, s36
	s_add_u32 s36, s0, s1
	s_cselect_b64 s[0:1], -1, 0
	s_cmp_lg_u64 s[0:1], 0
	s_addc_u32 s21, s21, s35
	s_mul_i32 s0, s4, s21
	s_mul_hi_u32 s1, s4, s36
	s_add_i32 s0, s1, s0
	s_mul_i32 s5, s5, s36
	s_add_i32 s0, s0, s5
	s_mul_i32 s4, s4, s36
	s_mul_hi_u32 s5, s21, s4
	s_mul_i32 s35, s21, s4
	s_mul_i32 s38, s36, s0
	s_mul_hi_u32 s4, s36, s4
	s_mul_hi_u32 s37, s36, s0
	s_add_u32 s4, s4, s38
	s_addc_u32 s37, 0, s37
	s_add_u32 s4, s4, s35
	s_mul_hi_u32 s1, s21, s0
	s_addc_u32 s4, s37, s5
	s_addc_u32 s1, s1, 0
	s_mul_i32 s0, s21, s0
	s_add_u32 s0, s4, s0
	s_addc_u32 s4, 0, s1
	s_add_u32 s5, s36, s0
	s_cselect_b64 s[0:1], -1, 0
	s_cmp_lg_u64 s[0:1], 0
	s_addc_u32 s4, s21, s4
	v_mad_u64_u32 v[10:11], s[0:1], v13, s4, 0
	v_mul_hi_u32 v3, v13, s5
	v_mad_u64_u32 v[15:16], s[0:1], v14, s4, 0
	v_add_co_u32_e32 v3, vcc, v3, v10
	v_addc_co_u32_e32 v17, vcc, 0, v11, vcc
	v_mad_u64_u32 v[10:11], s[0:1], v14, s5, 0
	v_add_co_u32_e32 v3, vcc, v3, v10
	v_addc_co_u32_e32 v3, vcc, v17, v11, vcc
	v_addc_co_u32_e32 v10, vcc, 0, v16, vcc
	v_add_co_u32_e32 v3, vcc, v3, v15
	v_addc_co_u32_e32 v15, vcc, 0, v10, vcc
	v_mul_lo_u32 v16, s56, v3
	v_mul_lo_u32 v17, s57, v15
	v_mad_u64_u32 v[10:11], s[0:1], s57, v3, 0
	v_add3_u32 v11, v11, v17, v16
	v_sub_u32_e32 v16, v14, v11
	v_mov_b32_e32 v17, s56
	v_sub_co_u32_e32 v10, vcc, v13, v10
	v_subb_co_u32_e64 v13, s[0:1], v16, v17, vcc
	v_subrev_co_u32_e64 v16, s[0:1], s57, v10
	v_subbrev_co_u32_e64 v13, s[0:1], 0, v13, s[0:1]
	v_cmp_le_u32_e64 s[0:1], s56, v13
	v_cndmask_b32_e64 v17, 0, -1, s[0:1]
	v_cmp_le_u32_e64 s[0:1], s57, v16
	v_cndmask_b32_e64 v16, 0, -1, s[0:1]
	v_cmp_eq_u32_e64 s[0:1], s56, v13
	v_cndmask_b32_e64 v13, v17, v16, s[0:1]
	v_add_co_u32_e64 v16, s[0:1], 2, v3
	v_subb_co_u32_e32 v11, vcc, v14, v11, vcc
	v_addc_co_u32_e64 v17, s[0:1], 0, v15, s[0:1]
	v_cmp_le_u32_e32 vcc, s56, v11
	v_add_co_u32_e64 v18, s[0:1], 1, v3
	v_cndmask_b32_e64 v14, 0, -1, vcc
	v_cmp_le_u32_e32 vcc, s57, v10
	v_addc_co_u32_e64 v19, s[0:1], 0, v15, s[0:1]
	v_cndmask_b32_e64 v10, 0, -1, vcc
	v_cmp_eq_u32_e32 vcc, s56, v11
	v_cmp_ne_u32_e64 s[0:1], 0, v13
	v_cndmask_b32_e32 v10, v14, v10, vcc
	v_cndmask_b32_e64 v13, v19, v17, s[0:1]
	v_cmp_ne_u32_e32 vcc, 0, v10
	v_cndmask_b32_e64 v10, v18, v16, s[0:1]
	v_cndmask_b32_e32 v11, v15, v13, vcc
	v_cndmask_b32_e32 v10, v3, v10, vcc
                                        ; implicit-def: $vgpr13
.LBB3_14:                               ;   in Loop: Header=BB3_4 Depth=1
	s_andn2_saveexec_b64 s[0:1], s[2:3]
	s_cbranch_execz .LBB3_16
; %bb.15:                               ;   in Loop: Header=BB3_4 Depth=1
	v_cvt_f32_u32_e32 v3, s57
	s_sub_i32 s2, 0, s57
	v_rcp_iflag_f32_e32 v3, v3
	v_mul_f32_e32 v3, 0x4f7ffffe, v3
	v_cvt_u32_f32_e32 v3, v3
	v_mul_lo_u32 v10, s2, v3
	v_mul_hi_u32 v10, v3, v10
	v_add_u32_e32 v3, v3, v10
	v_mul_hi_u32 v3, v13, v3
	v_mul_lo_u32 v10, v3, s57
	v_add_u32_e32 v11, 1, v3
	v_sub_u32_e32 v10, v13, v10
	v_subrev_u32_e32 v13, s57, v10
	v_cmp_le_u32_e32 vcc, s57, v10
	v_cndmask_b32_e32 v10, v10, v13, vcc
	v_cndmask_b32_e32 v3, v3, v11, vcc
	v_add_u32_e32 v11, 1, v3
	v_cmp_le_u32_e32 vcc, s57, v10
	v_cndmask_b32_e32 v10, v3, v11, vcc
	v_mov_b32_e32 v11, v2
.LBB3_16:                               ;   in Loop: Header=BB3_4 Depth=1
	s_or_b64 exec, exec, s[0:1]
	v_mul_lo_u32 v3, v7, s9
	v_mul_lo_u32 v13, v6, s33
	v_mad_u64_u32 v[6:7], s[0:1], v6, s9, 0
	v_add3_u32 v3, v7, v13, v3
	v_sub_co_u32_e32 v6, vcc, v0, v6
	v_subb_co_u32_e32 v3, vcc, v1, v3, vcc
	v_mul_lo_u32 v3, v3, s50
	v_mul_lo_u32 v7, v6, s49
	v_mad_u64_u32 v[13:14], s[0:1], v6, s50, 0
	v_add3_u32 v14, v14, v7, v3
	v_mov_b32_e32 v3, s51
	v_subrev_co_u32_e32 v6, vcc, s52, v13
	v_subb_co_u32_e32 v7, vcc, v14, v3, vcc
	v_cmp_lt_i64_e32 vcc, 0, v[6:7]
	v_cndmask_b32_e32 v16, 0, v6, vcc
	v_cndmask_b32_e32 v15, 0, v7, vcc
	v_add_co_u32_e32 v16, vcc, s52, v16
	v_addc_co_u32_e32 v17, vcc, v15, v3, vcc
	v_cmp_ne_u64_e32 vcc, v[16:17], v[13:14]
	v_cndmask_b32_e64 v15, 0, 1, vcc
	v_add_co_u32_e32 v3, vcc, v13, v15
	v_addc_co_u32_e32 v13, vcc, 0, v14, vcc
	v_sub_co_u32_e32 v16, vcc, v16, v3
	v_subb_co_u32_e32 v17, vcc, v17, v13, vcc
	v_or_b32_e32 v3, s58, v17
	v_cmp_ne_u64_e32 vcc, 0, v[2:3]
                                        ; implicit-def: $vgpr13_vgpr14
	s_and_saveexec_b64 s[0:1], vcc
	s_xor_b64 s[2:3], exec, s[0:1]
	s_cbranch_execz .LBB3_18
; %bb.17:                               ;   in Loop: Header=BB3_4 Depth=1
	v_cvt_f32_u32_e32 v3, s59
	v_cvt_f32_u32_e32 v13, s58
	s_sub_u32 s4, 0, s59
	s_subb_u32 s5, 0, s58
	v_mac_f32_e32 v3, 0x4f800000, v13
	v_rcp_f32_e32 v3, v3
	v_mul_f32_e32 v3, 0x5f7ffffc, v3
	v_mul_f32_e32 v13, 0x2f800000, v3
	v_trunc_f32_e32 v13, v13
	v_mac_f32_e32 v3, 0xcf800000, v13
	v_cvt_u32_f32_e32 v13, v13
	v_cvt_u32_f32_e32 v3, v3
	v_readfirstlane_b32 s21, v13
	v_readfirstlane_b32 s0, v3
	s_mul_i32 s1, s4, s21
	s_mul_hi_u32 s36, s4, s0
	s_mul_i32 s35, s5, s0
	s_add_i32 s1, s36, s1
	s_mul_i32 s37, s4, s0
	s_add_i32 s1, s1, s35
	s_mul_i32 s36, s0, s1
	s_mul_hi_u32 s38, s0, s37
	s_mul_hi_u32 s35, s0, s1
	s_add_u32 s36, s38, s36
	s_addc_u32 s35, 0, s35
	s_mul_hi_u32 s39, s21, s37
	s_mul_i32 s37, s21, s37
	s_add_u32 s36, s36, s37
	s_mul_hi_u32 s38, s21, s1
	s_addc_u32 s35, s35, s39
	s_addc_u32 s36, s38, 0
	s_mul_i32 s1, s21, s1
	s_add_u32 s1, s35, s1
	s_addc_u32 s35, 0, s36
	s_add_u32 s36, s0, s1
	s_cselect_b64 s[0:1], -1, 0
	s_cmp_lg_u64 s[0:1], 0
	s_addc_u32 s21, s21, s35
	s_mul_i32 s0, s4, s21
	s_mul_hi_u32 s1, s4, s36
	s_add_i32 s0, s1, s0
	s_mul_i32 s5, s5, s36
	s_add_i32 s0, s0, s5
	s_mul_i32 s4, s4, s36
	s_mul_hi_u32 s5, s21, s4
	s_mul_i32 s35, s21, s4
	s_mul_i32 s38, s36, s0
	s_mul_hi_u32 s4, s36, s4
	s_mul_hi_u32 s37, s36, s0
	s_add_u32 s4, s4, s38
	s_addc_u32 s37, 0, s37
	s_add_u32 s4, s4, s35
	s_mul_hi_u32 s1, s21, s0
	s_addc_u32 s4, s37, s5
	s_addc_u32 s1, s1, 0
	s_mul_i32 s0, s21, s0
	s_add_u32 s0, s4, s0
	s_addc_u32 s4, 0, s1
	s_add_u32 s5, s36, s0
	s_cselect_b64 s[0:1], -1, 0
	s_cmp_lg_u64 s[0:1], 0
	s_addc_u32 s4, s21, s4
	v_mad_u64_u32 v[13:14], s[0:1], v16, s4, 0
	v_mul_hi_u32 v3, v16, s5
	v_mad_u64_u32 v[18:19], s[0:1], v17, s4, 0
	v_add_co_u32_e32 v3, vcc, v3, v13
	v_addc_co_u32_e32 v20, vcc, 0, v14, vcc
	v_mad_u64_u32 v[13:14], s[0:1], v17, s5, 0
	v_add_co_u32_e32 v3, vcc, v3, v13
	v_addc_co_u32_e32 v3, vcc, v20, v14, vcc
	v_addc_co_u32_e32 v13, vcc, 0, v19, vcc
	v_add_co_u32_e32 v3, vcc, v3, v18
	v_addc_co_u32_e32 v18, vcc, 0, v13, vcc
	v_mul_lo_u32 v19, s58, v3
	v_mul_lo_u32 v20, s59, v18
	v_mad_u64_u32 v[13:14], s[0:1], s59, v3, 0
	v_add3_u32 v14, v14, v20, v19
	v_sub_u32_e32 v19, v17, v14
	v_mov_b32_e32 v20, s58
	v_sub_co_u32_e32 v13, vcc, v16, v13
	v_subb_co_u32_e64 v16, s[0:1], v19, v20, vcc
	v_subrev_co_u32_e64 v19, s[0:1], s59, v13
	v_subbrev_co_u32_e64 v16, s[0:1], 0, v16, s[0:1]
	v_cmp_le_u32_e64 s[0:1], s58, v16
	v_cndmask_b32_e64 v20, 0, -1, s[0:1]
	v_cmp_le_u32_e64 s[0:1], s59, v19
	v_cndmask_b32_e64 v19, 0, -1, s[0:1]
	v_cmp_eq_u32_e64 s[0:1], s58, v16
	v_cndmask_b32_e64 v16, v20, v19, s[0:1]
	v_add_co_u32_e64 v19, s[0:1], 2, v3
	v_subb_co_u32_e32 v14, vcc, v17, v14, vcc
	v_addc_co_u32_e64 v20, s[0:1], 0, v18, s[0:1]
	v_cmp_le_u32_e32 vcc, s58, v14
	v_add_co_u32_e64 v21, s[0:1], 1, v3
	v_cndmask_b32_e64 v17, 0, -1, vcc
	v_cmp_le_u32_e32 vcc, s59, v13
	v_addc_co_u32_e64 v22, s[0:1], 0, v18, s[0:1]
	v_cndmask_b32_e64 v13, 0, -1, vcc
	v_cmp_eq_u32_e32 vcc, s58, v14
	v_cmp_ne_u32_e64 s[0:1], 0, v16
	v_cndmask_b32_e32 v13, v17, v13, vcc
	v_cndmask_b32_e64 v16, v22, v20, s[0:1]
	v_cmp_ne_u32_e32 vcc, 0, v13
	v_cndmask_b32_e64 v13, v21, v19, s[0:1]
	v_cndmask_b32_e32 v14, v18, v16, vcc
	v_cndmask_b32_e32 v13, v3, v13, vcc
                                        ; implicit-def: $vgpr16
.LBB3_18:                               ;   in Loop: Header=BB3_4 Depth=1
	s_andn2_saveexec_b64 s[0:1], s[2:3]
	s_cbranch_execz .LBB3_20
; %bb.19:                               ;   in Loop: Header=BB3_4 Depth=1
	v_cvt_f32_u32_e32 v3, s59
	s_sub_i32 s2, 0, s59
	v_rcp_iflag_f32_e32 v3, v3
	v_mul_f32_e32 v3, 0x4f7ffffe, v3
	v_cvt_u32_f32_e32 v3, v3
	v_mul_lo_u32 v13, s2, v3
	v_mul_hi_u32 v13, v3, v13
	v_add_u32_e32 v3, v3, v13
	v_mul_hi_u32 v3, v16, v3
	v_mul_lo_u32 v13, v3, s59
	v_add_u32_e32 v14, 1, v3
	v_sub_u32_e32 v13, v16, v13
	v_subrev_u32_e32 v16, s59, v13
	v_cmp_le_u32_e32 vcc, s59, v13
	v_cndmask_b32_e32 v13, v13, v16, vcc
	v_cndmask_b32_e32 v3, v3, v14, vcc
	v_add_u32_e32 v14, 1, v3
	v_cmp_le_u32_e32 vcc, s59, v13
	v_cndmask_b32_e32 v13, v3, v14, vcc
	v_mov_b32_e32 v14, v2
.LBB3_20:                               ;   in Loop: Header=BB3_4 Depth=1
	s_or_b64 exec, exec, s[0:1]
	v_add_co_u32_e32 v3, vcc, v10, v12
	v_addc_co_u32_e32 v10, vcc, 0, v11, vcc
	v_mul_lo_u32 v16, v3, s11
	v_mad_u64_u32 v[11:12], s[0:1], v3, s10, v[8:9]
	v_add_co_u32_e32 v3, vcc, v13, v15
	v_addc_co_u32_e32 v9, vcc, 0, v14, vcc
	v_mul_lo_u32 v10, v10, s10
	v_mul_lo_u32 v15, v3, s13
	;; [unrolled: 1-line block ×3, first 2 shown]
	v_mad_u64_u32 v[13:14], s[0:1], v3, s12, v[6:7]
	v_add3_u32 v3, v10, v12, v16
	v_mul_lo_u32 v3, v3, s22
	v_add3_u32 v14, v9, v14, v15
	v_mad_u64_u32 v[9:10], s[0:1], v11, s22, v[13:14]
	v_mul_lo_u32 v7, v11, s23
	v_add_u32_e32 v8, s53, v8
	v_min_i32_e32 v12, s20, v8
	v_cmp_gt_i32_e32 vcc, v12, v11
	v_add3_u32 v10, v3, v10, v7
	v_mov_b32_e32 v7, 0
	v_mov_b32_e32 v8, 0xfff00000
	s_and_saveexec_b64 s[36:37], vcc
	s_cbranch_execz .LBB3_3
; %bb.21:                               ;   in Loop: Header=BB3_4 Depth=1
	v_add_u32_e32 v3, s54, v6
	v_mov_b32_e32 v6, s18
	v_mov_b32_e32 v7, s19
	v_mad_u64_u32 v[15:16], s[0:1], s14, v4, v[6:7]
	v_mul_lo_u32 v5, s14, v5
	v_mul_lo_u32 v4, s15, v4
	v_min_i32_e32 v17, s22, v3
	v_mov_b32_e32 v7, 0
	v_ashrrev_i32_e32 v3, 31, v11
	v_cmp_gt_i32_e32 vcc, v17, v13
	v_add3_u32 v16, v4, v16, v5
	v_mov_b32_e32 v8, 0xfff00000
	s_mov_b64 s[38:39], 0
	s_branch .LBB3_23
.LBB3_22:                               ;   in Loop: Header=BB3_23 Depth=2
	s_or_b64 exec, exec, s[40:41]
	v_add_u32_e32 v11, s6, v11
	v_cmp_ge_i32_e64 s[0:1], v11, v12
	s_or_b64 s[38:39], s[0:1], s[38:39]
	v_ashrrev_i32_e32 v3, 31, v11
	s_andn2_b64 exec, exec, s[38:39]
	s_cbranch_execz .LBB3_2
.LBB3_23:                               ;   Parent Loop BB3_4 Depth=1
                                        ; =>  This Loop Header: Depth=2
                                        ;       Child Loop BB3_25 Depth 3
	s_and_saveexec_b64 s[40:41], vcc
	s_cbranch_execz .LBB3_22
; %bb.24:                               ;   in Loop: Header=BB3_23 Depth=2
	v_ashrrev_i32_e32 v14, 31, v13
	v_mul_lo_u32 v5, v11, s23
	v_mul_lo_u32 v6, v3, s22
	v_mad_u64_u32 v[3:4], s[0:1], v11, s22, v[13:14]
	s_mov_b64 s[42:43], 0
	v_mov_b32_e32 v14, v13
	v_add3_u32 v4, v6, v4, v5
	v_lshlrev_b64 v[5:6], 3, v[3:4]
	v_add_co_u32_e64 v5, s[0:1], v15, v5
	v_addc_co_u32_e64 v6, s[0:1], v16, v6, s[0:1]
.LBB3_25:                               ;   Parent Loop BB3_4 Depth=1
                                        ;     Parent Loop BB3_23 Depth=2
                                        ; =>    This Inner Loop Header: Depth=3
	global_load_dwordx2 v[18:19], v[5:6], off
	v_mov_b32_e32 v21, s29
	v_add_co_u32_e64 v5, s[0:1], s28, v5
	v_add_u32_e32 v14, s7, v14
	v_addc_co_u32_e64 v6, s[0:1], v6, v21, s[0:1]
	v_cmp_ge_i32_e64 s[0:1], v14, v17
	v_mov_b32_e32 v20, s13
	s_waitcnt vmcnt(0)
	v_cmp_gt_f64_e64 s[2:3], v[18:19], v[7:8]
	v_cmp_u_f64_e64 s[4:5], v[18:19], v[18:19]
	s_or_b64 s[2:3], s[2:3], s[4:5]
	v_cndmask_b32_e64 v9, v9, v3, s[2:3]
	s_or_b64 s[42:43], s[0:1], s[42:43]
	v_add_co_u32_e64 v3, s[0:1], s12, v3
	v_cndmask_b32_e64 v8, v8, v19, s[2:3]
	v_cndmask_b32_e64 v7, v7, v18, s[2:3]
	;; [unrolled: 1-line block ×3, first 2 shown]
	v_addc_co_u32_e64 v4, s[0:1], v4, v20, s[0:1]
	s_andn2_b64 exec, exec, s[42:43]
	s_cbranch_execnz .LBB3_25
; %bb.26:                               ;   in Loop: Header=BB3_23 Depth=2
	s_or_b64 exec, exec, s[42:43]
	s_branch .LBB3_22
.LBB3_27:
	s_endpgm
	.section	.rodata,"a",@progbits
	.p2align	6, 0x0
	.amdhsa_kernel _ZN2at6native12_GLOBAL__N_121max_pool_forward_nchwIdlEEvT0_PKT_llliiiiiiiiiiPS4_Pl
		.amdhsa_group_segment_fixed_size 0
		.amdhsa_private_segment_fixed_size 0
		.amdhsa_kernarg_size 352
		.amdhsa_user_sgpr_count 6
		.amdhsa_user_sgpr_private_segment_buffer 1
		.amdhsa_user_sgpr_dispatch_ptr 0
		.amdhsa_user_sgpr_queue_ptr 0
		.amdhsa_user_sgpr_kernarg_segment_ptr 1
		.amdhsa_user_sgpr_dispatch_id 0
		.amdhsa_user_sgpr_flat_scratch_init 0
		.amdhsa_user_sgpr_private_segment_size 0
		.amdhsa_uses_dynamic_stack 0
		.amdhsa_system_sgpr_private_segment_wavefront_offset 0
		.amdhsa_system_sgpr_workgroup_id_x 1
		.amdhsa_system_sgpr_workgroup_id_y 0
		.amdhsa_system_sgpr_workgroup_id_z 0
		.amdhsa_system_sgpr_workgroup_info 0
		.amdhsa_system_vgpr_workitem_id 0
		.amdhsa_next_free_vgpr 23
		.amdhsa_next_free_sgpr 60
		.amdhsa_reserve_vcc 1
		.amdhsa_reserve_flat_scratch 0
		.amdhsa_float_round_mode_32 0
		.amdhsa_float_round_mode_16_64 0
		.amdhsa_float_denorm_mode_32 3
		.amdhsa_float_denorm_mode_16_64 3
		.amdhsa_dx10_clamp 1
		.amdhsa_ieee_mode 1
		.amdhsa_fp16_overflow 0
		.amdhsa_exception_fp_ieee_invalid_op 0
		.amdhsa_exception_fp_denorm_src 0
		.amdhsa_exception_fp_ieee_div_zero 0
		.amdhsa_exception_fp_ieee_overflow 0
		.amdhsa_exception_fp_ieee_underflow 0
		.amdhsa_exception_fp_ieee_inexact 0
		.amdhsa_exception_int_div_zero 0
	.end_amdhsa_kernel
	.section	.text._ZN2at6native12_GLOBAL__N_121max_pool_forward_nchwIdlEEvT0_PKT_llliiiiiiiiiiPS4_Pl,"axG",@progbits,_ZN2at6native12_GLOBAL__N_121max_pool_forward_nchwIdlEEvT0_PKT_llliiiiiiiiiiPS4_Pl,comdat
.Lfunc_end3:
	.size	_ZN2at6native12_GLOBAL__N_121max_pool_forward_nchwIdlEEvT0_PKT_llliiiiiiiiiiPS4_Pl, .Lfunc_end3-_ZN2at6native12_GLOBAL__N_121max_pool_forward_nchwIdlEEvT0_PKT_llliiiiiiiiiiPS4_Pl
                                        ; -- End function
	.set _ZN2at6native12_GLOBAL__N_121max_pool_forward_nchwIdlEEvT0_PKT_llliiiiiiiiiiPS4_Pl.num_vgpr, 23
	.set _ZN2at6native12_GLOBAL__N_121max_pool_forward_nchwIdlEEvT0_PKT_llliiiiiiiiiiPS4_Pl.num_agpr, 0
	.set _ZN2at6native12_GLOBAL__N_121max_pool_forward_nchwIdlEEvT0_PKT_llliiiiiiiiiiPS4_Pl.numbered_sgpr, 60
	.set _ZN2at6native12_GLOBAL__N_121max_pool_forward_nchwIdlEEvT0_PKT_llliiiiiiiiiiPS4_Pl.num_named_barrier, 0
	.set _ZN2at6native12_GLOBAL__N_121max_pool_forward_nchwIdlEEvT0_PKT_llliiiiiiiiiiPS4_Pl.private_seg_size, 0
	.set _ZN2at6native12_GLOBAL__N_121max_pool_forward_nchwIdlEEvT0_PKT_llliiiiiiiiiiPS4_Pl.uses_vcc, 1
	.set _ZN2at6native12_GLOBAL__N_121max_pool_forward_nchwIdlEEvT0_PKT_llliiiiiiiiiiPS4_Pl.uses_flat_scratch, 0
	.set _ZN2at6native12_GLOBAL__N_121max_pool_forward_nchwIdlEEvT0_PKT_llliiiiiiiiiiPS4_Pl.has_dyn_sized_stack, 0
	.set _ZN2at6native12_GLOBAL__N_121max_pool_forward_nchwIdlEEvT0_PKT_llliiiiiiiiiiPS4_Pl.has_recursion, 0
	.set _ZN2at6native12_GLOBAL__N_121max_pool_forward_nchwIdlEEvT0_PKT_llliiiiiiiiiiPS4_Pl.has_indirect_call, 0
	.section	.AMDGPU.csdata,"",@progbits
; Kernel info:
; codeLenInByte = 3924
; TotalNumSgprs: 64
; NumVgprs: 23
; ScratchSize: 0
; MemoryBound: 0
; FloatMode: 240
; IeeeMode: 1
; LDSByteSize: 0 bytes/workgroup (compile time only)
; SGPRBlocks: 7
; VGPRBlocks: 5
; NumSGPRsForWavesPerEU: 64
; NumVGPRsForWavesPerEU: 23
; Occupancy: 10
; WaveLimiterHint : 0
; COMPUTE_PGM_RSRC2:SCRATCH_EN: 0
; COMPUTE_PGM_RSRC2:USER_SGPR: 6
; COMPUTE_PGM_RSRC2:TRAP_HANDLER: 0
; COMPUTE_PGM_RSRC2:TGID_X_EN: 1
; COMPUTE_PGM_RSRC2:TGID_Y_EN: 0
; COMPUTE_PGM_RSRC2:TGID_Z_EN: 0
; COMPUTE_PGM_RSRC2:TIDIG_COMP_CNT: 0
	.section	.text._ZN2at6native12_GLOBAL__N_121max_pool_forward_nhwcIfiEEvPKT_iT0_S6_S6_S6_S6_iiiiiiiiS6_S6_S6_S6_iiPS3_Pl,"axG",@progbits,_ZN2at6native12_GLOBAL__N_121max_pool_forward_nhwcIfiEEvPKT_iT0_S6_S6_S6_S6_iiiiiiiiS6_S6_S6_S6_iiPS3_Pl,comdat
	.globl	_ZN2at6native12_GLOBAL__N_121max_pool_forward_nhwcIfiEEvPKT_iT0_S6_S6_S6_S6_iiiiiiiiS6_S6_S6_S6_iiPS3_Pl ; -- Begin function _ZN2at6native12_GLOBAL__N_121max_pool_forward_nhwcIfiEEvPKT_iT0_S6_S6_S6_S6_iiiiiiiiS6_S6_S6_S6_iiPS3_Pl
	.p2align	8
	.type	_ZN2at6native12_GLOBAL__N_121max_pool_forward_nhwcIfiEEvPKT_iT0_S6_S6_S6_S6_iiiiiiiiS6_S6_S6_S6_iiPS3_Pl,@function
_ZN2at6native12_GLOBAL__N_121max_pool_forward_nhwcIfiEEvPKT_iT0_S6_S6_S6_S6_iiiiiiiiS6_S6_S6_S6_iiPS3_Pl: ; @_ZN2at6native12_GLOBAL__N_121max_pool_forward_nhwcIfiEEvPKT_iT0_S6_S6_S6_S6_iiiiiiiiS6_S6_S6_S6_iiPS3_Pl
; %bb.0:
	s_load_dwordx4 s[0:3], s[4:5], 0x6c
	s_load_dwordx4 s[28:31], s[4:5], 0x48
	s_waitcnt lgkmcnt(0)
	s_lshr_b32 s54, s2, 16
	s_and_b32 s38, s2, 0xffff
	v_mad_u32_u24 v6, v2, s54, v1
	s_and_b32 s33, s3, 0xffff
	v_mad_u64_u32 v[3:4], s[2:3], v6, s38, v[0:1]
	s_mul_i32 s34, s31, s38
	s_mul_i32 s9, s34, s54
	;; [unrolled: 1-line block ×3, first 2 shown]
	v_cmp_gt_u32_e32 vcc, s9, v3
	s_and_saveexec_b64 s[2:3], vcc
	s_cbranch_execz .LBB4_3
; %bb.1:
	s_mul_i32 s12, s54, s38
	s_mul_i32 s12, s12, s33
	s_lshl_b32 s13, s9, 2
	v_lshl_add_u32 v4, v3, 2, 0
	s_lshl_b32 s14, s12, 2
	s_mov_b64 s[10:11], 0
	v_mov_b32_e32 v5, 0xff800000
	v_mov_b32_e32 v7, 0
.LBB4_2:                                ; =>This Inner Loop Header: Depth=1
	v_add_u32_e32 v3, s12, v3
	v_cmp_le_u32_e32 vcc, s9, v3
	v_add_u32_e32 v8, s13, v4
	ds_write_b32 v4, v7
	v_add_u32_e32 v4, s14, v4
	s_or_b64 s[10:11], vcc, s[10:11]
	ds_write_b32 v8, v5
	s_andn2_b64 exec, exec, s[10:11]
	s_cbranch_execnz .LBB4_2
.LBB4_3:
	s_or_b64 exec, exec, s[2:3]
	v_cvt_f32_u32_e32 v3, s1
	s_load_dwordx16 s[12:27], s[4:5], 0x8
	s_sub_i32 s2, 0, s1
	s_waitcnt lgkmcnt(0)
	v_rcp_iflag_f32_e32 v3, v3
	s_barrier
	s_add_i32 s3, s16, s1
	s_add_i32 s3, s3, -1
	v_mul_f32_e32 v3, 0x4f7ffffe, v3
	v_cvt_u32_f32_e32 v3, v3
	v_cvt_f32_u32_e32 v4, s12
	v_readfirstlane_b32 s10, v3
	s_mul_i32 s2, s2, s10
	s_mul_hi_u32 s11, s10, s2
	s_add_i32 s10, s10, s11
	s_mul_hi_u32 s10, s3, s10
	v_cvt_f32_u32_e32 v3, s0
	s_mul_i32 s11, s10, s1
	s_sub_i32 s3, s3, s11
	s_add_i32 s11, s10, 1
	s_sub_i32 s35, s3, s1
	v_rcp_iflag_f32_e32 v4, v4
	v_rcp_iflag_f32_e32 v3, v3
	s_cmp_ge_u32 s3, s1
	s_cselect_b32 s10, s11, s10
	s_cselect_b32 s3, s35, s3
	s_add_i32 s11, s10, 1
	s_cmp_ge_u32 s3, s1
	v_mul_f32_e32 v4, 0x4f7ffffe, v4
	v_mul_f32_e32 v3, 0x4f7ffffe, v3
	s_cselect_b32 s3, s11, s10
	v_cvt_u32_f32_e32 v4, v4
	v_cvt_u32_f32_e32 v3, v3
	s_mul_i32 s8, s3, s8
	v_add_u32_e32 v14, s8, v2
	v_add_u32_e32 v2, s3, v14
	v_min_i32_e32 v15, s16, v2
	v_readfirstlane_b32 s2, v4
	v_readfirstlane_b32 s1, v3
	v_cmp_lt_i32_e32 vcc, v14, v15
	s_and_saveexec_b64 s[10:11], vcc
	s_cbranch_execz .LBB4_74
; %bb.4:
	s_sub_i32 s3, 0, s12
	s_mul_i32 s3, s3, s2
	s_mul_hi_u32 s3, s2, s3
	s_add_i32 s2, s2, s3
	s_add_i32 s3, s17, s0
	s_add_i32 s35, s3, -1
	s_sub_i32 s3, 0, s0
	s_mul_i32 s3, s3, s1
	s_mul_hi_u32 s3, s1, s3
	s_mul_hi_u32 s2, s6, s2
	s_add_i32 s1, s1, s3
	s_lshl_b32 s3, s9, 2
	s_add_i32 s39, s3, 0
	s_mul_i32 s3, s2, s12
	s_sub_i32 s3, s6, s3
	s_add_i32 s8, s2, 1
	s_sub_i32 s9, s3, s12
	s_cmp_ge_u32 s3, s12
	s_cselect_b32 s2, s8, s2
	s_cselect_b32 s3, s9, s3
	s_add_i32 s8, s2, 1
	s_cmp_ge_u32 s3, s12
	s_cselect_b32 s42, s8, s2
	s_load_dwordx2 s[36:37], s[4:5], 0x0
	s_mul_i32 s2, s42, s12
	s_sub_i32 s6, s6, s2
	s_mul_i32 s2, s16, s13
	s_mul_i32 s2, s2, s17
	;; [unrolled: 1-line block ×4, first 2 shown]
	s_ashr_i32 s9, s8, 31
	s_mul_hi_u32 s1, s35, s1
	s_ashr_i32 s3, s2, 31
	s_lshl_b64 s[40:41], s[8:9], 2
	s_load_dwordx4 s[8:11], s[4:5], 0x58
	s_waitcnt lgkmcnt(0)
	s_add_u32 s12, s36, s40
	s_mul_i32 s4, s1, s0
	s_addc_u32 s55, s37, s41
	s_sub_i32 s4, s35, s4
	s_add_i32 s5, s1, 1
	s_sub_i32 s6, s4, s0
	s_cmp_ge_u32 s4, s0
	s_cselect_b32 s1, s5, s1
	s_cselect_b32 s4, s6, s4
	s_add_i32 s5, s1, 1
	s_cmp_ge_u32 s4, s0
	s_cselect_b32 s6, s5, s1
	s_add_i32 s0, s18, -1
	s_mul_i32 s56, s24, s0
	s_add_i32 s0, s19, -1
	s_mul_i32 s57, s25, s0
	s_add_i32 s56, s56, 1
	s_add_i32 s57, s57, 1
	s_max_i32 s0, s18, s19
	s_cmp_lt_i32 s0, 4
	s_mul_i32 s18, s30, s38
	s_cselect_b64 s[0:1], -1, 0
	s_cmp_le_u32 s13, s18
	s_cselect_b64 s[4:5], -1, 0
	s_max_u32 s58, s24, 1
	v_mul_lo_u32 v3, s34, v6
	v_cvt_f32_u32_e32 v4, s58
	s_mul_i32 s42, s42, s38
	v_add_u32_e32 v2, s42, v0
	v_lshlrev_b32_e32 v9, 2, v3
	v_rcp_iflag_f32_e32 v3, v4
	s_and_b64 s[34:35], s[0:1], s[4:5]
	s_sub_i32 s0, 0, s58
	v_mul_lo_u32 v4, v2, s27
	v_mul_f32_e32 v3, 0x4f7ffffe, v3
	v_cvt_u32_f32_e32 v3, v3
	s_lshl_b32 s59, s25, 1
	v_ashrrev_i32_e32 v5, 31, v4
	v_lshlrev_b64 v[7:8], 2, v[4:5]
	v_mul_lo_u32 v11, s0, v3
	v_mov_b32_e32 v5, s55
	v_add_co_u32_e32 v16, vcc, s12, v7
	v_mul_hi_u32 v11, v3, v11
	v_addc_co_u32_e32 v17, vcc, v5, v8, vcc
	v_lshlrev_b32_e32 v5, 2, v0
	v_add_u32_e32 v0, v3, v11
	s_lshl_b32 s60, s38, 2
	s_lshl_b64 s[0:1], s[2:3], 2
	v_ashrrev_i32_e32 v3, 31, v2
	v_lshlrev_b64 v[7:8], 2, v[2:3]
	s_add_u32 s0, s8, s0
	s_addc_u32 s1, s9, s1
	s_ashr_i32 s19, s18, 31
	v_mov_b32_e32 v11, s1
	v_add_co_u32_e32 v18, vcc, s0, v7
	s_lshl_b64 s[36:37], s[18:19], 2
	s_lshl_b64 s[0:1], s[2:3], 3
	v_addc_co_u32_e32 v19, vcc, v11, v8, vcc
	v_lshlrev_b64 v[7:8], 3, v[2:3]
	s_add_u32 s0, s10, s0
	s_mul_i32 s7, s6, s7
	s_addc_u32 s1, s11, s1
	v_add3_u32 v23, s39, v9, v5
	v_add_u32_e32 v24, 0, v5
	s_mul_i32 s4, s54, s33
	v_mul_lo_u32 v5, s31, v6
	v_lshlrev_b32_e32 v6, 2, v6
	v_add_u32_e32 v1, s7, v1
	v_mov_b32_e32 v11, s1
	v_add_co_u32_e32 v3, vcc, s0, v7
	v_lshl_add_u32 v6, s4, 2, v6
	v_addc_co_u32_e32 v20, vcc, v11, v8, vcc
	v_mad_u64_u32 v[7:8], s[0:1], s17, v14, v[1:2]
	v_mul_lo_u32 v6, s31, v6
	v_mul_lo_u32 v5, v5, s38
	v_mul_lo_u32 v22, s13, v7
	v_add_u32_e32 v10, s6, v1
	v_mul_lo_u32 v26, v6, s38
	v_min_i32_e32 v21, s17, v10
	s_mul_i32 s62, s17, s13
	v_cmp_lt_i32_e64 s[0:1], v1, v21
	v_cmp_gt_i32_e64 s[2:3], s13, v2
	v_add_u32_e32 v25, v24, v9
	s_mul_i32 s61, s18, s27
	v_lshlrev_b32_e32 v27, 2, v5
	s_mul_i32 s62, s62, s33
	s_mul_i32 s63, s13, s54
	s_lshl_b64 s[16:17], s[18:19], 3
	s_mov_b64 s[26:27], 0
	v_mov_b32_e32 v28, 0
	v_mov_b32_e32 v29, 0xff800000
	s_branch .LBB4_6
.LBB4_5:                                ;   in Loop: Header=BB4_6 Depth=1
	s_or_b64 exec, exec, s[30:31]
	v_add_u32_e32 v14, s33, v14
	v_cmp_ge_i32_e32 vcc, v14, v15
	s_or_b64 s[26:27], vcc, s[26:27]
	v_add_u32_e32 v22, s62, v22
	s_andn2_b64 exec, exec, s[26:27]
	s_cbranch_execz .LBB4_74
.LBB4_6:                                ; =>This Loop Header: Depth=1
                                        ;     Child Loop BB4_9 Depth 2
                                        ;       Child Loop BB4_10 Depth 3
                                        ;       Child Loop BB4_63 Depth 3
                                        ;         Child Loop BB4_66 Depth 4
                                        ;           Child Loop BB4_69 Depth 5
                                        ;       Child Loop BB4_73 Depth 3
	s_and_saveexec_b64 s[30:31], s[0:1]
	s_cbranch_execz .LBB4_5
; %bb.7:                                ;   in Loop: Header=BB4_6 Depth=1
	v_mul_lo_u32 v6, v14, s20
	s_mov_b64 s[38:39], 0
	v_mov_b32_e32 v5, v22
	v_mov_b32_e32 v31, v1
	v_subrev_u32_e32 v7, s22, v6
	v_add_u32_e32 v6, s56, v7
	v_min_i32_e32 v30, s14, v6
	s_branch .LBB4_9
.LBB4_8:                                ;   in Loop: Header=BB4_9 Depth=2
	s_or_b64 exec, exec, s[4:5]
	v_add_u32_e32 v31, s54, v31
	v_cmp_ge_i32_e32 vcc, v31, v21
	s_or_b64 s[38:39], vcc, s[38:39]
	v_add_u32_e32 v5, s63, v5
	s_andn2_b64 exec, exec, s[38:39]
	s_cbranch_execz .LBB4_5
.LBB4_9:                                ;   Parent Loop BB4_6 Depth=1
                                        ; =>  This Loop Header: Depth=2
                                        ;       Child Loop BB4_10 Depth 3
                                        ;       Child Loop BB4_63 Depth 3
                                        ;         Child Loop BB4_66 Depth 4
                                        ;           Child Loop BB4_69 Depth 5
                                        ;       Child Loop BB4_73 Depth 3
	v_mul_lo_u32 v6, v31, s21
	s_mov_b64 s[4:5], 0
	s_waitcnt vmcnt(0)
	v_subrev_u32_e32 v8, s23, v6
	v_mov_b32_e32 v33, v8
.LBB4_10:                               ;   Parent Loop BB4_6 Depth=1
                                        ;     Parent Loop BB4_9 Depth=2
                                        ; =>    This Inner Loop Header: Depth=3
	v_mov_b32_e32 v6, v33
	v_cmp_lt_i32_e32 vcc, -1, v6
	s_or_b64 s[4:5], vcc, s[4:5]
	v_add_u32_e32 v33, s25, v6
	s_andn2_b64 exec, exec, s[4:5]
	s_cbranch_execnz .LBB4_10
; %bb.11:                               ;   in Loop: Header=BB4_9 Depth=2
	s_or_b64 exec, exec, s[4:5]
	v_lshrrev_b32_e32 v10, 31, v7
	v_max_i32_e32 v9, 0, v7
	v_add_u32_e32 v11, v7, v10
	v_sub_u32_e32 v9, v9, v11
	v_mul_hi_u32 v11, v9, v0
	v_add_u32_e32 v13, s57, v8
	v_min_i32_e32 v32, s15, v13
	v_mul_lo_u32 v12, v11, s58
	v_add_u32_e32 v8, 1, v11
	v_sub_u32_e32 v9, v9, v12
	v_cmp_le_u32_e32 vcc, s58, v9
	v_cndmask_b32_e32 v8, v11, v8, vcc
	v_subrev_u32_e32 v11, s58, v9
	v_cndmask_b32_e32 v9, v9, v11, vcc
	v_add_u32_e32 v11, 1, v8
	v_cmp_le_u32_e32 vcc, s58, v9
	v_cndmask_b32_e32 v8, v8, v11, vcc
	v_add_u32_e32 v8, v10, v8
	v_mad_u64_u32 v[7:8], s[4:5], s24, v8, v[7:8]
	s_mov_b64 s[4:5], -1
	s_and_b64 vcc, exec, s[34:35]
	v_cmp_lt_i32_e64 s[8:9], v7, v30
	s_cbranch_vccnz .LBB4_14
; %bb.12:                               ;   in Loop: Header=BB4_9 Depth=2
	s_and_b64 vcc, exec, s[4:5]
	s_cbranch_vccnz .LBB4_60
.LBB4_13:                               ;   in Loop: Header=BB4_9 Depth=2
	s_and_saveexec_b64 s[4:5], s[2:3]
	s_cbranch_execz .LBB4_8
	s_branch .LBB4_72
.LBB4_14:                               ;   in Loop: Header=BB4_9 Depth=2
	v_mul_lo_u32 v8, v7, s28
	v_cmp_lt_i32_e32 vcc, v6, v32
	v_mov_b32_e32 v35, 0
	v_mov_b32_e32 v37, 0
	v_ashrrev_i32_e32 v9, 31, v8
	v_lshlrev_b64 v[8:9], 2, v[8:9]
	v_add_co_u32_e64 v38, s[4:5], v16, v8
	v_mul_lo_u32 v8, v6, s29
	v_addc_co_u32_e64 v39, s[4:5], v17, v9, s[4:5]
	s_and_b64 s[4:5], s[8:9], vcc
	s_and_b64 s[40:41], s[2:3], s[4:5]
	v_ashrrev_i32_e32 v9, 31, v8
	s_and_saveexec_b64 s[6:7], s[40:41]
	s_cbranch_execz .LBB4_16
; %bb.15:                               ;   in Loop: Header=BB4_9 Depth=2
	v_lshlrev_b64 v[10:11], 2, v[8:9]
	v_add_co_u32_e64 v10, s[4:5], v38, v10
	v_addc_co_u32_e64 v11, s[4:5], v39, v11, s[4:5]
	global_load_dword v37, v[10:11], off
.LBB4_16:                               ;   in Loop: Header=BB4_9 Depth=2
	s_or_b64 exec, exec, s[6:7]
	v_mul_lo_u32 v10, v33, s29
	v_cmp_lt_i32_e64 s[4:5], v33, v32
	s_and_b64 s[6:7], s[8:9], s[4:5]
	s_and_b64 s[42:43], s[2:3], s[6:7]
	v_ashrrev_i32_e32 v11, 31, v10
	s_and_saveexec_b64 s[10:11], s[42:43]
	s_cbranch_execz .LBB4_18
; %bb.17:                               ;   in Loop: Header=BB4_9 Depth=2
	v_lshlrev_b64 v[12:13], 2, v[10:11]
	v_add_co_u32_e64 v12, s[6:7], v38, v12
	v_addc_co_u32_e64 v13, s[6:7], v39, v13, s[6:7]
	global_load_dword v35, v[12:13], off
.LBB4_18:                               ;   in Loop: Header=BB4_9 Depth=2
	s_or_b64 exec, exec, s[10:11]
	v_add_u32_e32 v34, s59, v6
	v_mul_lo_u32 v12, v34, s29
	v_cmp_lt_i32_e64 s[6:7], v34, v32
	s_and_b64 s[8:9], s[8:9], s[6:7]
	s_and_b64 s[44:45], s[2:3], s[8:9]
	v_mov_b32_e32 v36, 0
	v_ashrrev_i32_e32 v13, 31, v12
	v_mov_b32_e32 v40, 0
	s_and_saveexec_b64 s[10:11], s[44:45]
	s_cbranch_execz .LBB4_20
; %bb.19:                               ;   in Loop: Header=BB4_9 Depth=2
	v_lshlrev_b64 v[40:41], 2, v[12:13]
	v_add_co_u32_e64 v38, s[8:9], v38, v40
	v_addc_co_u32_e64 v39, s[8:9], v39, v41, s[8:9]
	global_load_dword v40, v[38:39], off
.LBB4_20:                               ;   in Loop: Header=BB4_9 Depth=2
	s_or_b64 exec, exec, s[10:11]
	v_add_u32_e32 v41, s24, v7
	v_mul_lo_u32 v38, v41, s28
	v_cmp_lt_i32_e64 s[8:9], v41, v30
	v_ashrrev_i32_e32 v39, 31, v38
	v_lshlrev_b64 v[42:43], 2, v[38:39]
	v_add_co_u32_e64 v39, s[10:11], v16, v42
	v_addc_co_u32_e64 v43, s[10:11], v17, v43, s[10:11]
	s_and_b64 s[10:11], s[8:9], vcc
	s_and_b64 s[46:47], s[2:3], s[10:11]
	s_and_saveexec_b64 s[48:49], s[46:47]
	s_cbranch_execz .LBB4_22
; %bb.21:                               ;   in Loop: Header=BB4_9 Depth=2
	v_lshlrev_b64 v[44:45], 2, v[8:9]
	v_add_co_u32_e64 v44, s[10:11], v39, v44
	v_addc_co_u32_e64 v45, s[10:11], v43, v45, s[10:11]
	global_load_dword v36, v[44:45], off
.LBB4_22:                               ;   in Loop: Header=BB4_9 Depth=2
	s_or_b64 exec, exec, s[48:49]
	s_and_b64 s[10:11], s[8:9], s[4:5]
	s_and_b64 s[48:49], s[2:3], s[10:11]
	v_mov_b32_e32 v38, 0
	v_mov_b32_e32 v42, 0
	s_and_saveexec_b64 s[50:51], s[48:49]
	s_cbranch_execz .LBB4_24
; %bb.23:                               ;   in Loop: Header=BB4_9 Depth=2
	v_lshlrev_b64 v[44:45], 2, v[10:11]
	v_add_co_u32_e64 v44, s[10:11], v39, v44
	v_addc_co_u32_e64 v45, s[10:11], v43, v45, s[10:11]
	global_load_dword v42, v[44:45], off
.LBB4_24:                               ;   in Loop: Header=BB4_9 Depth=2
	s_or_b64 exec, exec, s[50:51]
	s_and_b64 s[8:9], s[8:9], s[6:7]
	s_and_b64 s[50:51], s[2:3], s[8:9]
	s_and_saveexec_b64 s[10:11], s[50:51]
	s_cbranch_execz .LBB4_26
; %bb.25:                               ;   in Loop: Header=BB4_9 Depth=2
	v_lshlrev_b64 v[44:45], 2, v[12:13]
	v_add_co_u32_e64 v38, s[8:9], v39, v44
	v_addc_co_u32_e64 v39, s[8:9], v43, v45, s[8:9]
	global_load_dword v38, v[38:39], off
.LBB4_26:                               ;   in Loop: Header=BB4_9 Depth=2
	s_or_b64 exec, exec, s[10:11]
	v_add_u32_e32 v43, s24, v41
	v_mul_lo_u32 v44, v43, s28
	v_cmp_lt_i32_e64 s[8:9], v43, v30
	v_mov_b32_e32 v39, 0
	v_ashrrev_i32_e32 v45, 31, v44
	v_lshlrev_b64 v[45:46], 2, v[44:45]
	v_mov_b32_e32 v44, 0
	v_add_co_u32_e64 v45, s[10:11], v16, v45
	v_addc_co_u32_e64 v46, s[10:11], v17, v46, s[10:11]
	s_and_b64 s[10:11], s[8:9], vcc
	s_and_b64 s[10:11], s[2:3], s[10:11]
	s_and_saveexec_b64 s[52:53], s[10:11]
	s_cbranch_execz .LBB4_28
; %bb.27:                               ;   in Loop: Header=BB4_9 Depth=2
	v_lshlrev_b64 v[8:9], 2, v[8:9]
	v_add_co_u32_e32 v8, vcc, v45, v8
	v_addc_co_u32_e32 v9, vcc, v46, v9, vcc
	global_load_dword v44, v[8:9], off
.LBB4_28:                               ;   in Loop: Header=BB4_9 Depth=2
	s_or_b64 exec, exec, s[52:53]
	s_and_b64 s[4:5], s[8:9], s[4:5]
	s_and_b64 s[52:53], s[2:3], s[4:5]
	s_and_saveexec_b64 s[4:5], s[52:53]
	s_cbranch_execz .LBB4_30
; %bb.29:                               ;   in Loop: Header=BB4_9 Depth=2
	v_lshlrev_b64 v[8:9], 2, v[10:11]
	v_add_co_u32_e32 v8, vcc, v45, v8
	v_addc_co_u32_e32 v9, vcc, v46, v9, vcc
	global_load_dword v39, v[8:9], off
.LBB4_30:                               ;   in Loop: Header=BB4_9 Depth=2
	s_or_b64 exec, exec, s[4:5]
	s_and_b64 s[4:5], s[8:9], s[6:7]
	s_and_b64 s[6:7], s[2:3], s[4:5]
	v_mov_b32_e32 v8, 0
	s_and_saveexec_b64 s[4:5], s[6:7]
	s_cbranch_execz .LBB4_32
; %bb.31:                               ;   in Loop: Header=BB4_9 Depth=2
	v_lshlrev_b64 v[8:9], 2, v[12:13]
	v_add_co_u32_e32 v8, vcc, v45, v8
	v_addc_co_u32_e32 v9, vcc, v46, v9, vcc
	global_load_dword v8, v[8:9], off
.LBB4_32:                               ;   in Loop: Header=BB4_9 Depth=2
	s_or_b64 exec, exec, s[4:5]
	v_mul_lo_u32 v9, v7, s15
	s_and_saveexec_b64 s[8:9], s[40:41]
	s_cbranch_execz .LBB4_35
; %bb.33:                               ;   in Loop: Header=BB4_9 Depth=2
	ds_read_b32 v10, v23
	s_waitcnt vmcnt(0)
	v_cmp_u_f32_e64 s[4:5], v37, v37
	s_waitcnt lgkmcnt(0)
	v_cmp_gt_f32_e32 vcc, v37, v10
	s_or_b64 s[4:5], s[4:5], vcc
	s_and_b64 exec, exec, s[4:5]
	s_cbranch_execz .LBB4_35
; %bb.34:                               ;   in Loop: Header=BB4_9 Depth=2
	v_add_u32_e32 v10, v6, v9
	ds_write_b32 v23, v37
	ds_write_b32 v25, v10
.LBB4_35:                               ;   in Loop: Header=BB4_9 Depth=2
	s_or_b64 exec, exec, s[8:9]
	s_and_saveexec_b64 s[8:9], s[42:43]
	s_cbranch_execz .LBB4_38
; %bb.36:                               ;   in Loop: Header=BB4_9 Depth=2
	ds_read_b32 v10, v23
	s_waitcnt vmcnt(0)
	v_cmp_u_f32_e64 s[4:5], v35, v35
	s_waitcnt lgkmcnt(0)
	v_cmp_gt_f32_e32 vcc, v35, v10
	s_or_b64 s[4:5], s[4:5], vcc
	s_and_b64 exec, exec, s[4:5]
	s_cbranch_execz .LBB4_38
; %bb.37:                               ;   in Loop: Header=BB4_9 Depth=2
	v_add_u32_e32 v10, v33, v9
	ds_write_b32 v23, v35
	ds_write_b32 v25, v10
.LBB4_38:                               ;   in Loop: Header=BB4_9 Depth=2
	s_or_b64 exec, exec, s[8:9]
	s_and_saveexec_b64 s[8:9], s[44:45]
	s_cbranch_execz .LBB4_41
; %bb.39:                               ;   in Loop: Header=BB4_9 Depth=2
	ds_read_b32 v10, v23
	s_waitcnt vmcnt(0)
	v_cmp_u_f32_e64 s[4:5], v40, v40
	s_waitcnt lgkmcnt(0)
	v_cmp_gt_f32_e32 vcc, v40, v10
	s_or_b64 s[4:5], s[4:5], vcc
	s_and_b64 exec, exec, s[4:5]
	s_cbranch_execz .LBB4_41
; %bb.40:                               ;   in Loop: Header=BB4_9 Depth=2
	v_add_u32_e32 v9, v34, v9
	ds_write_b32 v23, v40
	ds_write_b32 v25, v9
.LBB4_41:                               ;   in Loop: Header=BB4_9 Depth=2
	s_or_b64 exec, exec, s[8:9]
	v_mul_lo_u32 v9, v41, s15
	s_and_saveexec_b64 s[8:9], s[46:47]
	s_cbranch_execz .LBB4_44
; %bb.42:                               ;   in Loop: Header=BB4_9 Depth=2
	ds_read_b32 v10, v23
	s_waitcnt vmcnt(0)
	v_cmp_u_f32_e64 s[4:5], v36, v36
	s_waitcnt lgkmcnt(0)
	v_cmp_gt_f32_e32 vcc, v36, v10
	s_or_b64 s[4:5], s[4:5], vcc
	s_and_b64 exec, exec, s[4:5]
	s_cbranch_execz .LBB4_44
; %bb.43:                               ;   in Loop: Header=BB4_9 Depth=2
	v_add_u32_e32 v10, v6, v9
	ds_write_b32 v23, v36
	ds_write_b32 v25, v10
.LBB4_44:                               ;   in Loop: Header=BB4_9 Depth=2
	s_or_b64 exec, exec, s[8:9]
	s_and_saveexec_b64 s[8:9], s[48:49]
	s_cbranch_execz .LBB4_47
; %bb.45:                               ;   in Loop: Header=BB4_9 Depth=2
	ds_read_b32 v10, v23
	s_waitcnt vmcnt(0)
	v_cmp_u_f32_e64 s[4:5], v42, v42
	s_waitcnt lgkmcnt(0)
	v_cmp_gt_f32_e32 vcc, v42, v10
	s_or_b64 s[4:5], s[4:5], vcc
	s_and_b64 exec, exec, s[4:5]
	s_cbranch_execz .LBB4_47
; %bb.46:                               ;   in Loop: Header=BB4_9 Depth=2
	v_add_u32_e32 v10, v33, v9
	ds_write_b32 v23, v42
	ds_write_b32 v25, v10
.LBB4_47:                               ;   in Loop: Header=BB4_9 Depth=2
	s_or_b64 exec, exec, s[8:9]
	s_and_saveexec_b64 s[8:9], s[50:51]
	s_cbranch_execz .LBB4_50
; %bb.48:                               ;   in Loop: Header=BB4_9 Depth=2
	ds_read_b32 v10, v23
	s_waitcnt vmcnt(0)
	v_cmp_u_f32_e64 s[4:5], v38, v38
	s_waitcnt lgkmcnt(0)
	v_cmp_gt_f32_e32 vcc, v38, v10
	s_or_b64 s[4:5], s[4:5], vcc
	s_and_b64 exec, exec, s[4:5]
	s_cbranch_execz .LBB4_50
; %bb.49:                               ;   in Loop: Header=BB4_9 Depth=2
	v_add_u32_e32 v9, v34, v9
	ds_write_b32 v23, v38
	ds_write_b32 v25, v9
.LBB4_50:                               ;   in Loop: Header=BB4_9 Depth=2
	;; [unrolled: 52-line block ×3, first 2 shown]
	s_or_b64 exec, exec, s[8:9]
	s_branch .LBB4_13
.LBB4_60:                               ;   in Loop: Header=BB4_9 Depth=2
	v_cmp_lt_i32_e32 vcc, v7, v30
	s_and_saveexec_b64 s[8:9], vcc
	s_cbranch_execz .LBB4_71
; %bb.61:                               ;   in Loop: Header=BB4_9 Depth=2
	v_cmp_lt_i32_e32 vcc, v6, v32
	s_mov_b64 s[10:11], 0
	v_mov_b32_e32 v10, v7
	s_branch .LBB4_63
.LBB4_62:                               ;   in Loop: Header=BB4_63 Depth=3
	s_or_b64 exec, exec, s[40:41]
	v_add_u32_e32 v10, s24, v10
	v_cmp_ge_i32_e64 s[4:5], v10, v30
	s_or_b64 s[10:11], s[4:5], s[10:11]
	s_andn2_b64 exec, exec, s[10:11]
	s_cbranch_execz .LBB4_71
.LBB4_63:                               ;   Parent Loop BB4_6 Depth=1
                                        ;     Parent Loop BB4_9 Depth=2
                                        ; =>    This Loop Header: Depth=3
                                        ;         Child Loop BB4_66 Depth 4
                                        ;           Child Loop BB4_69 Depth 5
	s_and_saveexec_b64 s[40:41], vcc
	s_cbranch_execz .LBB4_62
; %bb.64:                               ;   in Loop: Header=BB4_63 Depth=3
	s_waitcnt vmcnt(0)
	v_mul_lo_u32 v8, v10, s28
	v_mul_lo_u32 v11, v10, s15
	v_mov_b32_e32 v13, s55
	s_mov_b64 s[42:43], 0
	v_ashrrev_i32_e32 v9, 31, v8
	v_lshlrev_b64 v[8:9], 2, v[8:9]
	v_mov_b32_e32 v33, v6
	v_add_co_u32_e64 v12, s[4:5], s12, v8
	v_addc_co_u32_e64 v13, s[4:5], v13, v9, s[4:5]
	s_branch .LBB4_66
.LBB4_65:                               ;   in Loop: Header=BB4_66 Depth=4
	s_or_b64 exec, exec, s[44:45]
	v_add_u32_e32 v33, s25, v33
	v_cmp_ge_i32_e64 s[4:5], v33, v32
	s_or_b64 s[42:43], s[4:5], s[42:43]
	s_andn2_b64 exec, exec, s[42:43]
	s_cbranch_execz .LBB4_62
.LBB4_66:                               ;   Parent Loop BB4_6 Depth=1
                                        ;     Parent Loop BB4_9 Depth=2
                                        ;       Parent Loop BB4_63 Depth=3
                                        ; =>      This Loop Header: Depth=4
                                        ;           Child Loop BB4_69 Depth 5
	s_and_saveexec_b64 s[44:45], s[2:3]
	s_cbranch_execz .LBB4_65
; %bb.67:                               ;   in Loop: Header=BB4_66 Depth=4
	v_mul_lo_u32 v8, v33, s29
	v_add_u32_e32 v34, v33, v11
	s_mov_b64 s[46:47], 0
	v_mov_b32_e32 v37, v24
	v_ashrrev_i32_e32 v9, 31, v8
	v_lshlrev_b64 v[8:9], 2, v[8:9]
	v_mov_b32_e32 v38, v2
	v_add_co_u32_e64 v35, s[4:5], v12, v8
	v_addc_co_u32_e64 v36, s[4:5], v13, v9, s[4:5]
	v_mov_b32_e32 v8, v4
	s_branch .LBB4_69
.LBB4_68:                               ;   in Loop: Header=BB4_69 Depth=5
	s_or_b64 exec, exec, s[4:5]
	v_add_u32_e32 v38, s18, v38
	v_cmp_le_i32_e64 s[4:5], s13, v38
	v_add_u32_e32 v8, s61, v8
	s_or_b64 s[46:47], s[4:5], s[46:47]
	v_add_u32_e32 v37, s60, v37
	s_andn2_b64 exec, exec, s[46:47]
	s_cbranch_execz .LBB4_65
.LBB4_69:                               ;   Parent Loop BB4_6 Depth=1
                                        ;     Parent Loop BB4_9 Depth=2
                                        ;       Parent Loop BB4_63 Depth=3
                                        ;         Parent Loop BB4_66 Depth=4
                                        ; =>        This Inner Loop Header: Depth=5
	v_ashrrev_i32_e32 v9, 31, v8
	v_lshlrev_b64 v[39:40], 2, v[8:9]
	v_add_co_u32_e64 v39, s[4:5], v35, v39
	v_addc_co_u32_e64 v40, s[4:5], v36, v40, s[4:5]
	global_load_dword v9, v[39:40], off
	v_add_u32_e32 v39, v37, v26
	ds_read_b32 v40, v39
	s_waitcnt vmcnt(0) lgkmcnt(0)
	v_cmp_gt_f32_e64 s[4:5], v9, v40
	v_cmp_u_f32_e64 s[6:7], v9, v9
	s_or_b64 s[6:7], s[6:7], s[4:5]
	s_and_saveexec_b64 s[4:5], s[6:7]
	s_cbranch_execz .LBB4_68
; %bb.70:                               ;   in Loop: Header=BB4_69 Depth=5
	ds_write_b32 v39, v9
	v_add_u32_e32 v9, v37, v27
	ds_write_b32 v9, v34
	s_branch .LBB4_68
.LBB4_71:                               ;   in Loop: Header=BB4_9 Depth=2
	s_or_b64 exec, exec, s[8:9]
	s_and_saveexec_b64 s[4:5], s[2:3]
	s_cbranch_execz .LBB4_8
.LBB4_72:                               ;   in Loop: Header=BB4_9 Depth=2
	v_ashrrev_i32_e32 v6, 31, v5
	s_waitcnt vmcnt(0)
	v_lshlrev_b64 v[8:9], 2, v[5:6]
	v_lshlrev_b64 v[10:11], 3, v[5:6]
	v_add_co_u32_e32 v8, vcc, v18, v8
	v_addc_co_u32_e32 v9, vcc, v19, v9, vcc
	v_add_co_u32_e32 v10, vcc, v3, v10
	v_addc_co_u32_e32 v11, vcc, v20, v11, vcc
	s_mov_b64 s[6:7], 0
	v_mov_b32_e32 v6, v24
	v_mov_b32_e32 v12, v2
.LBB4_73:                               ;   Parent Loop BB4_6 Depth=1
                                        ;     Parent Loop BB4_9 Depth=2
                                        ; =>    This Inner Loop Header: Depth=3
	v_add_u32_e32 v13, v6, v26
	v_add_u32_e32 v33, v6, v27
	ds_read_b32 v36, v13
	ds_read_b32 v32, v33
	v_add_u32_e32 v12, s18, v12
	v_cmp_le_i32_e32 vcc, s13, v12
	v_mov_b32_e32 v34, s37
	ds_write_b32 v13, v29
	ds_write_b32 v33, v28
	s_or_b64 s[6:7], vcc, s[6:7]
	s_waitcnt lgkmcnt(3)
	global_store_dword v[8:9], v36, off
	v_add_co_u32_e32 v8, vcc, s36, v8
	s_waitcnt lgkmcnt(2)
	v_ashrrev_i32_e32 v33, 31, v32
	v_addc_co_u32_e32 v9, vcc, v9, v34, vcc
	v_mov_b32_e32 v35, s17
	global_store_dwordx2 v[10:11], v[32:33], off
	v_add_co_u32_e32 v10, vcc, s16, v10
	v_add_u32_e32 v6, s60, v6
	v_addc_co_u32_e32 v11, vcc, v11, v35, vcc
	s_andn2_b64 exec, exec, s[6:7]
	s_cbranch_execnz .LBB4_73
	s_branch .LBB4_8
.LBB4_74:
	s_endpgm
	.section	.rodata,"a",@progbits
	.p2align	6, 0x0
	.amdhsa_kernel _ZN2at6native12_GLOBAL__N_121max_pool_forward_nhwcIfiEEvPKT_iT0_S6_S6_S6_S6_iiiiiiiiS6_S6_S6_S6_iiPS3_Pl
		.amdhsa_group_segment_fixed_size 0
		.amdhsa_private_segment_fixed_size 0
		.amdhsa_kernarg_size 360
		.amdhsa_user_sgpr_count 6
		.amdhsa_user_sgpr_private_segment_buffer 1
		.amdhsa_user_sgpr_dispatch_ptr 0
		.amdhsa_user_sgpr_queue_ptr 0
		.amdhsa_user_sgpr_kernarg_segment_ptr 1
		.amdhsa_user_sgpr_dispatch_id 0
		.amdhsa_user_sgpr_flat_scratch_init 0
		.amdhsa_user_sgpr_private_segment_size 0
		.amdhsa_uses_dynamic_stack 0
		.amdhsa_system_sgpr_private_segment_wavefront_offset 0
		.amdhsa_system_sgpr_workgroup_id_x 1
		.amdhsa_system_sgpr_workgroup_id_y 1
		.amdhsa_system_sgpr_workgroup_id_z 1
		.amdhsa_system_sgpr_workgroup_info 0
		.amdhsa_system_vgpr_workitem_id 2
		.amdhsa_next_free_vgpr 47
		.amdhsa_next_free_sgpr 64
		.amdhsa_reserve_vcc 1
		.amdhsa_reserve_flat_scratch 0
		.amdhsa_float_round_mode_32 0
		.amdhsa_float_round_mode_16_64 0
		.amdhsa_float_denorm_mode_32 3
		.amdhsa_float_denorm_mode_16_64 3
		.amdhsa_dx10_clamp 1
		.amdhsa_ieee_mode 1
		.amdhsa_fp16_overflow 0
		.amdhsa_exception_fp_ieee_invalid_op 0
		.amdhsa_exception_fp_denorm_src 0
		.amdhsa_exception_fp_ieee_div_zero 0
		.amdhsa_exception_fp_ieee_overflow 0
		.amdhsa_exception_fp_ieee_underflow 0
		.amdhsa_exception_fp_ieee_inexact 0
		.amdhsa_exception_int_div_zero 0
	.end_amdhsa_kernel
	.section	.text._ZN2at6native12_GLOBAL__N_121max_pool_forward_nhwcIfiEEvPKT_iT0_S6_S6_S6_S6_iiiiiiiiS6_S6_S6_S6_iiPS3_Pl,"axG",@progbits,_ZN2at6native12_GLOBAL__N_121max_pool_forward_nhwcIfiEEvPKT_iT0_S6_S6_S6_S6_iiiiiiiiS6_S6_S6_S6_iiPS3_Pl,comdat
.Lfunc_end4:
	.size	_ZN2at6native12_GLOBAL__N_121max_pool_forward_nhwcIfiEEvPKT_iT0_S6_S6_S6_S6_iiiiiiiiS6_S6_S6_S6_iiPS3_Pl, .Lfunc_end4-_ZN2at6native12_GLOBAL__N_121max_pool_forward_nhwcIfiEEvPKT_iT0_S6_S6_S6_S6_iiiiiiiiS6_S6_S6_S6_iiPS3_Pl
                                        ; -- End function
	.set _ZN2at6native12_GLOBAL__N_121max_pool_forward_nhwcIfiEEvPKT_iT0_S6_S6_S6_S6_iiiiiiiiS6_S6_S6_S6_iiPS3_Pl.num_vgpr, 47
	.set _ZN2at6native12_GLOBAL__N_121max_pool_forward_nhwcIfiEEvPKT_iT0_S6_S6_S6_S6_iiiiiiiiS6_S6_S6_S6_iiPS3_Pl.num_agpr, 0
	.set _ZN2at6native12_GLOBAL__N_121max_pool_forward_nhwcIfiEEvPKT_iT0_S6_S6_S6_S6_iiiiiiiiS6_S6_S6_S6_iiPS3_Pl.numbered_sgpr, 64
	.set _ZN2at6native12_GLOBAL__N_121max_pool_forward_nhwcIfiEEvPKT_iT0_S6_S6_S6_S6_iiiiiiiiS6_S6_S6_S6_iiPS3_Pl.num_named_barrier, 0
	.set _ZN2at6native12_GLOBAL__N_121max_pool_forward_nhwcIfiEEvPKT_iT0_S6_S6_S6_S6_iiiiiiiiS6_S6_S6_S6_iiPS3_Pl.private_seg_size, 0
	.set _ZN2at6native12_GLOBAL__N_121max_pool_forward_nhwcIfiEEvPKT_iT0_S6_S6_S6_S6_iiiiiiiiS6_S6_S6_S6_iiPS3_Pl.uses_vcc, 1
	.set _ZN2at6native12_GLOBAL__N_121max_pool_forward_nhwcIfiEEvPKT_iT0_S6_S6_S6_S6_iiiiiiiiS6_S6_S6_S6_iiPS3_Pl.uses_flat_scratch, 0
	.set _ZN2at6native12_GLOBAL__N_121max_pool_forward_nhwcIfiEEvPKT_iT0_S6_S6_S6_S6_iiiiiiiiS6_S6_S6_S6_iiPS3_Pl.has_dyn_sized_stack, 0
	.set _ZN2at6native12_GLOBAL__N_121max_pool_forward_nhwcIfiEEvPKT_iT0_S6_S6_S6_S6_iiiiiiiiS6_S6_S6_S6_iiPS3_Pl.has_recursion, 0
	.set _ZN2at6native12_GLOBAL__N_121max_pool_forward_nhwcIfiEEvPKT_iT0_S6_S6_S6_S6_iiiiiiiiS6_S6_S6_S6_iiPS3_Pl.has_indirect_call, 0
	.section	.AMDGPU.csdata,"",@progbits
; Kernel info:
; codeLenInByte = 3128
; TotalNumSgprs: 68
; NumVgprs: 47
; ScratchSize: 0
; MemoryBound: 0
; FloatMode: 240
; IeeeMode: 1
; LDSByteSize: 0 bytes/workgroup (compile time only)
; SGPRBlocks: 8
; VGPRBlocks: 11
; NumSGPRsForWavesPerEU: 68
; NumVGPRsForWavesPerEU: 47
; Occupancy: 5
; WaveLimiterHint : 1
; COMPUTE_PGM_RSRC2:SCRATCH_EN: 0
; COMPUTE_PGM_RSRC2:USER_SGPR: 6
; COMPUTE_PGM_RSRC2:TRAP_HANDLER: 0
; COMPUTE_PGM_RSRC2:TGID_X_EN: 1
; COMPUTE_PGM_RSRC2:TGID_Y_EN: 1
; COMPUTE_PGM_RSRC2:TGID_Z_EN: 1
; COMPUTE_PGM_RSRC2:TIDIG_COMP_CNT: 2
	.section	.text._ZN2at6native12_GLOBAL__N_121max_pool_forward_nhwcIflEEvPKT_iT0_S6_S6_S6_S6_iiiiiiiiS6_S6_S6_S6_iiPS3_Pl,"axG",@progbits,_ZN2at6native12_GLOBAL__N_121max_pool_forward_nhwcIflEEvPKT_iT0_S6_S6_S6_S6_iiiiiiiiS6_S6_S6_S6_iiPS3_Pl,comdat
	.globl	_ZN2at6native12_GLOBAL__N_121max_pool_forward_nhwcIflEEvPKT_iT0_S6_S6_S6_S6_iiiiiiiiS6_S6_S6_S6_iiPS3_Pl ; -- Begin function _ZN2at6native12_GLOBAL__N_121max_pool_forward_nhwcIflEEvPKT_iT0_S6_S6_S6_S6_iiiiiiiiS6_S6_S6_S6_iiPS3_Pl
	.p2align	8
	.type	_ZN2at6native12_GLOBAL__N_121max_pool_forward_nhwcIflEEvPKT_iT0_S6_S6_S6_S6_iiiiiiiiS6_S6_S6_S6_iiPS3_Pl,@function
_ZN2at6native12_GLOBAL__N_121max_pool_forward_nhwcIflEEvPKT_iT0_S6_S6_S6_S6_iiiiiiiiS6_S6_S6_S6_iiPS3_Pl: ; @_ZN2at6native12_GLOBAL__N_121max_pool_forward_nhwcIflEEvPKT_iT0_S6_S6_S6_S6_iiiiiiiiS6_S6_S6_S6_iiPS3_Pl
; %bb.0:
	s_load_dwordx4 s[0:3], s[4:5], 0x94
	s_load_dwordx2 s[10:11], s[4:5], 0x78
	s_waitcnt lgkmcnt(0)
	s_lshr_b32 s60, s2, 16
	s_and_b32 s9, s2, 0xffff
	v_mad_u32_u24 v6, v2, s60, v1
	s_and_b32 s33, s3, 0xffff
	v_mad_u64_u32 v[3:4], s[2:3], v6, s9, v[0:1]
	s_mul_i32 s14, s11, s9
	s_mul_i32 s15, s14, s60
	;; [unrolled: 1-line block ×3, first 2 shown]
	v_cmp_gt_u32_e32 vcc, s15, v3
	s_and_saveexec_b64 s[2:3], vcc
	s_cbranch_execz .LBB5_3
; %bb.1:
	s_mul_i32 s16, s60, s9
	s_lshl_b32 s12, s15, 3
	s_mul_i32 s16, s16, s33
	s_add_i32 s12, s12, 0
	v_mov_b32_e32 v4, 0
	v_lshl_add_u32 v7, v3, 2, s12
	s_lshl_b32 s17, s16, 2
	v_lshl_add_u32 v8, v3, 3, 0
	s_lshl_b32 s18, s16, 3
	s_mov_b64 s[12:13], 0
	v_mov_b32_e32 v9, 0xff800000
	v_mov_b32_e32 v5, v4
.LBB5_2:                                ; =>This Inner Loop Header: Depth=1
	v_add_u32_e32 v3, s16, v3
	v_cmp_le_u32_e32 vcc, s15, v3
	ds_write_b32 v7, v9
	ds_write_b64 v8, v[4:5]
	v_add_u32_e32 v7, s17, v7
	s_or_b64 s[12:13], vcc, s[12:13]
	v_add_u32_e32 v8, s18, v8
	s_andn2_b64 exec, exec, s[12:13]
	s_cbranch_execnz .LBB5_2
.LBB5_3:
	s_or_b64 exec, exec, s[2:3]
	v_cvt_f32_u32_e32 v3, s1
	s_load_dword s2, s[4:5], 0x8
	s_load_dwordx8 s[20:27], s[4:5], 0x10
	s_sub_i32 s3, 0, s1
	s_waitcnt lgkmcnt(0)
	v_rcp_iflag_f32_e32 v3, v3
	v_cvt_f32_u32_e32 v4, s2
	s_add_i32 s12, s26, s1
	s_add_i32 s12, s12, -1
	v_mul_f32_e32 v3, 0x4f7ffffe, v3
	v_cvt_u32_f32_e32 v3, v3
	v_rcp_iflag_f32_e32 v4, v4
	s_barrier
	v_readfirstlane_b32 s13, v3
	s_mul_i32 s16, s3, s13
	s_mul_hi_u32 s16, s13, s16
	s_add_i32 s13, s13, s16
	s_mul_hi_u32 s13, s12, s13
	v_cvt_f32_u32_e32 v3, s0
	s_mul_i32 s16, s13, s1
	s_sub_i32 s12, s12, s16
	s_add_i32 s16, s13, 1
	s_sub_i32 s17, s12, s1
	v_rcp_iflag_f32_e32 v3, v3
	s_cmp_ge_u32 s12, s1
	s_cselect_b32 s13, s16, s13
	s_cselect_b32 s12, s17, s12
	s_add_i32 s16, s13, 1
	s_cmp_ge_u32 s12, s1
	v_mul_f32_e32 v4, 0x4f7ffffe, v4
	v_mul_f32_e32 v3, 0x4f7ffffe, v3
	s_cselect_b32 s12, s16, s13
	v_cvt_u32_f32_e32 v4, v4
	v_cvt_u32_f32_e32 v3, v3
	s_mul_i32 s8, s12, s8
	v_add_u32_e32 v33, s8, v2
	v_add_u32_e32 v2, s12, v33
	v_min_i32_e32 v34, s26, v2
	v_readfirstlane_b32 s3, v4
	v_readfirstlane_b32 s1, v3
	v_cmp_lt_i32_e32 vcc, v33, v34
	s_and_saveexec_b64 s[12:13], vcc
	s_cbranch_execz .LBB5_78
; %bb.4:
	s_load_dwordx2 s[18:19], s[4:5], 0x30
	s_load_dwordx2 s[12:13], s[4:5], 0x0
	s_sub_i32 s8, 0, s2
	s_mul_i32 s8, s8, s3
	s_mul_hi_u32 s8, s3, s8
	s_add_i32 s3, s3, s8
	s_waitcnt lgkmcnt(0)
	s_add_i32 s8, s18, s0
	s_add_i32 s28, s8, -1
	s_sub_i32 s8, 0, s0
	s_mul_i32 s8, s8, s1
	s_mul_hi_u32 s3, s6, s3
	s_mul_hi_u32 s8, s1, s8
	s_add_i32 s1, s1, s8
	s_lshl_b32 s8, s15, 3
	s_mul_i32 s15, s3, s2
	s_sub_i32 s15, s6, s15
	s_add_i32 s8, s8, 0
	s_add_i32 s16, s3, 1
	s_sub_i32 s17, s15, s2
	s_cmp_ge_u32 s15, s2
	s_cselect_b32 s3, s16, s3
	s_cselect_b32 s15, s17, s15
	s_add_i32 s16, s3, 1
	s_load_dwordx8 s[36:43], s[4:5], 0x58
	s_cmp_ge_u32 s15, s2
	s_cselect_b32 s15, s16, s3
	s_mul_i32 s2, s15, s2
	s_sub_i32 s2, s6, s2
	s_ashr_i32 s3, s2, 31
	s_waitcnt lgkmcnt(0)
	s_mul_i32 s6, s36, s3
	s_mul_hi_u32 s16, s36, s2
	s_add_i32 s6, s16, s6
	s_mul_i32 s16, s37, s2
	s_add_i32 s17, s6, s16
	s_mul_i32 s16, s36, s2
	s_mul_hi_u32 s1, s28, s1
	s_lshl_b64 s[16:17], s[16:17], 2
	s_add_u32 s61, s12, s16
	s_mul_i32 s6, s1, s0
	s_addc_u32 s62, s13, s17
	s_sub_i32 s6, s28, s6
	s_add_i32 s12, s1, 1
	s_sub_i32 s13, s6, s0
	s_cmp_ge_u32 s6, s0
	s_cselect_b32 s1, s12, s1
	s_cselect_b32 s6, s13, s6
	s_add_i32 s12, s1, 1
	v_mul_lo_u32 v2, s14, v6
	s_cmp_ge_u32 s6, s0
	s_cselect_b32 s12, s12, s1
	s_mul_i32 s0, s12, s7
	s_mul_i32 s15, s15, s9
	v_add_u32_e32 v35, s0, v1
	v_add_u32_e32 v1, s15, v0
	s_load_dwordx8 s[44:51], s[4:5], 0x38
	v_lshlrev_b32_e32 v13, 2, v2
	v_lshlrev_b32_e32 v14, 3, v2
	s_load_dwordx4 s[4:7], s[4:5], 0x80
	v_ashrrev_i32_e32 v2, 31, v1
	s_mul_i32 s28, s10, s9
	v_mul_lo_u32 v9, s38, v2
	v_mul_lo_u32 v10, s39, v1
	v_mad_u64_u32 v[3:4], s[0:1], s38, v1, 0
	v_mov_b32_e32 v5, 0
	v_mov_b32_e32 v7, s28
	;; [unrolled: 1-line block ×3, first 2 shown]
	v_cmp_le_i64_e32 vcc, s[20:21], v[7:8]
	v_lshlrev_b64 v[7:8], 3, v[1:2]
	v_add3_u32 v4, v4, v9, v10
	s_waitcnt lgkmcnt(0)
	v_mov_b32_e32 v9, s7
	v_add_co_u32_e64 v7, s[0:1], s6, v7
	v_addc_co_u32_e64 v8, s[0:1], v9, v8, s[0:1]
	v_lshlrev_b64 v[9:10], 2, v[1:2]
	v_mov_b32_e32 v11, s5
	v_add_co_u32_e64 v9, s[0:1], s4, v9
	v_addc_co_u32_e64 v10, s[0:1], v11, v10, s[0:1]
	v_lshlrev_b64 v[11:12], 2, v[3:4]
	v_mov_b32_e32 v15, s62
	v_add_co_u32_e64 v36, s[0:1], s61, v11
	v_addc_co_u32_e64 v37, s[0:1], v15, v12, s[0:1]
	s_add_i32 s0, s44, -1
	s_add_i32 s4, s45, -1
	s_mul_i32 s0, s50, s0
	s_mul_i32 s4, s51, s4
	s_add_i32 s65, s0, 1
	s_add_i32 s69, s4, 1
	s_ashr_i32 s63, s48, 31
	s_ashr_i32 s66, s65, 31
	;; [unrolled: 1-line block ×6, first 2 shown]
	s_max_i32 s4, s44, s45
	s_cmp_lt_i32 s4, 4
	s_mov_b32 s30, s50
	s_cselect_b64 s[4:5], -1, 0
	s_and_b64 s[34:35], s[4:5], vcc
	v_cmp_gt_u64_e64 s[4:5], s[30:31], 1
	s_ashr_i32 s6, s10, 31
	s_and_b64 s[4:5], s[4:5], exec
	s_cselect_b32 s72, s31, 0
	s_cselect_b32 s73, s50, 1
	s_add_u32 s4, s49, s51
	s_addc_u32 s5, s67, s71
	s_sub_u32 s74, 0, s4
	v_add_u32_e32 v11, s12, v35
	s_subb_u32 s75, 0, s5
	s_mul_hi_u32 s4, s38, s10
	s_mul_i32 s5, s38, s6
	v_min_i32_e32 v38, s18, v11
	v_lshlrev_b32_e32 v11, 2, v0
	s_add_i32 s4, s4, s5
	s_mul_i32 s5, s39, s10
	v_add3_u32 v39, s8, v13, v11
	s_add_i32 s4, s4, s5
	s_mul_i32 s5, s60, s33
	v_lshlrev_b32_e32 v13, 2, v6
	v_lshl_add_u32 v13, s5, 3, v13
	s_mul_i32 s5, s38, s10
	v_mul_lo_u32 v6, s11, v6
	v_mul_lo_u32 v13, s11, v13
	s_mul_i32 s4, s4, s9
	s_mul_hi_u32 s6, s5, s9
	s_add_i32 s76, s6, s4
	s_mul_i32 s77, s5, s9
	s_mul_i32 s4, s18, s27
	s_mul_hi_u32 s5, s18, s26
	s_add_i32 s4, s5, s4
	s_mul_i32 s5, s19, s26
	v_mul_lo_u32 v6, v6, s9
	s_add_i32 s4, s4, s5
	s_mul_i32 s5, s18, s26
	v_mul_lo_u32 v13, v13, s9
	s_mul_i32 s3, s5, s3
	s_mul_hi_u32 s6, s5, s2
	s_add_i32 s3, s6, s3
	s_mul_i32 s4, s4, s2
	s_add_i32 s3, s3, s4
	s_mul_i32 s2, s5, s2
	s_mul_hi_i32 s29, s9, s10
	v_lshlrev_b32_e32 v12, 3, v0
	v_lshlrev_b32_e32 v6, 3, v6
	s_lshl_b64 s[26:27], s[2:3], 3
	s_lshl_b64 s[36:37], s[2:3], 2
	v_cmp_le_i64_e64 s[2:3], s[20:21], v[1:2]
	v_cmp_gt_i64_e64 s[4:5], s[20:21], v[1:2]
	s_mov_b32 s64, s48
	v_cmp_lt_i32_e64 s[0:1], v35, v38
	s_mov_b32 s68, s49
	v_add3_u32 v0, 0, v14, v12
	v_add3_u32 v40, v13, v11, 0
	s_lshl_b32 s78, s9, 2
	v_add3_u32 v41, v6, v12, 0
	s_lshl_b32 s79, s9, 3
	v_mov_b32_e32 v42, 0xff800000
	s_mov_b32 s80, s51
	s_mov_b64 s[38:39], 0
	s_lshl_b64 s[44:45], s[28:29], 3
	s_lshl_b64 s[48:49], s[28:29], 2
	s_branch .LBB5_6
.LBB5_5:                                ;   in Loop: Header=BB5_6 Depth=1
	s_or_b64 exec, exec, s[52:53]
	v_add_u32_e32 v33, s33, v33
	v_cmp_ge_i32_e32 vcc, v33, v34
	s_or_b64 s[38:39], vcc, s[38:39]
	s_andn2_b64 exec, exec, s[38:39]
	s_cbranch_execz .LBB5_78
.LBB5_6:                                ; =>This Loop Header: Depth=1
                                        ;     Child Loop BB5_9 Depth 2
                                        ;       Child Loop BB5_14 Depth 3
                                        ;       Child Loop BB5_67 Depth 3
                                        ;         Child Loop BB5_70 Depth 4
                                        ;           Child Loop BB5_73 Depth 5
                                        ;       Child Loop BB5_77 Depth 3
	s_and_saveexec_b64 s[52:53], s[0:1]
	s_cbranch_execz .LBB5_5
; %bb.7:                                ;   in Loop: Header=BB5_6 Depth=1
	v_ashrrev_i32_e32 v6, 31, v33
	v_mul_lo_u32 v15, s19, v33
	v_mul_lo_u32 v6, s18, v6
	v_mad_u64_u32 v[11:12], s[6:7], s18, v33, 0
	v_mad_i64_i32 v[13:14], s[6:7], v33, s46, 0
	v_add3_u32 v12, v12, v6, v15
	v_mov_b32_e32 v6, s63
	v_subrev_co_u32_e32 v13, vcc, s64, v13
	v_subb_co_u32_e32 v14, vcc, v14, v6, vcc
	v_mov_b32_e32 v6, s66
	v_add_co_u32_e32 v15, vcc, s65, v13
	v_addc_co_u32_e32 v16, vcc, v14, v6, vcc
	v_cmp_gt_i64_e32 vcc, s[22:23], v[15:16]
	v_mov_b32_e32 v6, s23
	v_cndmask_b32_e32 v16, v6, v16, vcc
	v_mov_b32_e32 v6, s22
	v_cndmask_b32_e32 v15, v6, v15, vcc
	s_mov_b64 s[54:55], 0
	v_mov_b32_e32 v43, v35
	s_branch .LBB5_9
.LBB5_8:                                ;   in Loop: Header=BB5_9 Depth=2
	s_or_b64 exec, exec, s[6:7]
	v_add_u32_e32 v43, s60, v43
	v_cmp_ge_i32_e32 vcc, v43, v38
	s_or_b64 s[54:55], vcc, s[54:55]
	s_andn2_b64 exec, exec, s[54:55]
	s_cbranch_execz .LBB5_5
.LBB5_9:                                ;   Parent Loop BB5_6 Depth=1
                                        ; =>  This Loop Header: Depth=2
                                        ;       Child Loop BB5_14 Depth 3
                                        ;       Child Loop BB5_67 Depth 3
                                        ;         Child Loop BB5_70 Depth 4
                                        ;           Child Loop BB5_73 Depth 5
                                        ;       Child Loop BB5_77 Depth 3
	v_cmp_lt_i64_e32 vcc, 0, v[13:14]
	v_lshrrev_b32_e32 v23, 31, v14
	v_cndmask_b32_e32 v6, 0, v14, vcc
	v_cndmask_b32_e32 v17, 0, v13, vcc
	v_add_co_u32_e32 v18, vcc, v13, v23
	v_addc_co_u32_e32 v19, vcc, 0, v14, vcc
	v_sub_co_u32_e32 v17, vcc, v17, v18
	v_subb_co_u32_e32 v18, vcc, v6, v19, vcc
	v_or_b32_e32 v6, s72, v18
	v_cmp_ne_u64_e32 vcc, 0, v[5:6]
                                        ; implicit-def: $vgpr19_vgpr20
	s_and_saveexec_b64 s[6:7], vcc
	s_xor_b64 s[8:9], exec, s[6:7]
	s_cbranch_execz .LBB5_11
; %bb.10:                               ;   in Loop: Header=BB5_9 Depth=2
	v_cvt_f32_u32_e32 v6, s73
	v_cvt_f32_u32_e32 v19, s72
	s_sub_u32 s10, 0, s73
	s_subb_u32 s11, 0, s72
	v_mac_f32_e32 v6, 0x4f800000, v19
	v_rcp_f32_e32 v6, v6
	v_mul_f32_e32 v6, 0x5f7ffffc, v6
	v_mul_f32_e32 v19, 0x2f800000, v6
	v_trunc_f32_e32 v19, v19
	v_mac_f32_e32 v6, 0xcf800000, v19
	v_cvt_u32_f32_e32 v19, v19
	v_cvt_u32_f32_e32 v6, v6
	v_readfirstlane_b32 s12, v19
	v_readfirstlane_b32 s6, v6
	s_mul_i32 s7, s10, s12
	s_mul_hi_u32 s14, s10, s6
	s_mul_i32 s13, s11, s6
	s_add_i32 s7, s14, s7
	s_mul_i32 s15, s10, s6
	s_add_i32 s7, s7, s13
	s_mul_i32 s14, s6, s7
	s_mul_hi_u32 s16, s6, s15
	s_mul_hi_u32 s13, s6, s7
	s_add_u32 s14, s16, s14
	s_addc_u32 s13, 0, s13
	s_mul_hi_u32 s17, s12, s15
	s_mul_i32 s15, s12, s15
	s_add_u32 s14, s14, s15
	s_mul_hi_u32 s16, s12, s7
	s_addc_u32 s13, s13, s17
	s_addc_u32 s14, s16, 0
	s_mul_i32 s7, s12, s7
	s_add_u32 s7, s13, s7
	s_addc_u32 s13, 0, s14
	s_add_u32 s14, s6, s7
	s_cselect_b64 s[6:7], -1, 0
	s_cmp_lg_u64 s[6:7], 0
	s_addc_u32 s12, s12, s13
	s_mul_i32 s6, s10, s12
	s_mul_hi_u32 s7, s10, s14
	s_add_i32 s6, s7, s6
	s_mul_i32 s11, s11, s14
	s_add_i32 s6, s6, s11
	s_mul_i32 s10, s10, s14
	s_mul_hi_u32 s11, s12, s10
	s_mul_i32 s13, s12, s10
	s_mul_i32 s16, s14, s6
	s_mul_hi_u32 s10, s14, s10
	s_mul_hi_u32 s15, s14, s6
	s_add_u32 s10, s10, s16
	s_addc_u32 s15, 0, s15
	s_add_u32 s10, s10, s13
	s_mul_hi_u32 s7, s12, s6
	s_addc_u32 s10, s15, s11
	s_addc_u32 s7, s7, 0
	s_mul_i32 s6, s12, s6
	s_add_u32 s6, s10, s6
	s_addc_u32 s10, 0, s7
	s_add_u32 s11, s14, s6
	s_cselect_b64 s[6:7], -1, 0
	s_cmp_lg_u64 s[6:7], 0
	s_addc_u32 s10, s12, s10
	v_mad_u64_u32 v[19:20], s[6:7], v17, s10, 0
	v_mul_hi_u32 v6, v17, s11
	v_mad_u64_u32 v[21:22], s[6:7], v18, s10, 0
	v_add_co_u32_e32 v6, vcc, v6, v19
	v_addc_co_u32_e32 v24, vcc, 0, v20, vcc
	v_mad_u64_u32 v[19:20], s[6:7], v18, s11, 0
	v_add_co_u32_e32 v6, vcc, v6, v19
	v_addc_co_u32_e32 v6, vcc, v24, v20, vcc
	v_addc_co_u32_e32 v19, vcc, 0, v22, vcc
	v_add_co_u32_e32 v6, vcc, v6, v21
	v_addc_co_u32_e32 v21, vcc, 0, v19, vcc
	v_mul_lo_u32 v22, s72, v6
	v_mul_lo_u32 v24, s73, v21
	v_mad_u64_u32 v[19:20], s[6:7], s73, v6, 0
	v_add3_u32 v20, v20, v24, v22
	v_sub_u32_e32 v22, v18, v20
	v_mov_b32_e32 v24, s72
	v_sub_co_u32_e32 v17, vcc, v17, v19
	v_subb_co_u32_e64 v19, s[6:7], v22, v24, vcc
	v_subrev_co_u32_e64 v22, s[6:7], s73, v17
	v_subbrev_co_u32_e64 v19, s[6:7], 0, v19, s[6:7]
	v_cmp_le_u32_e64 s[6:7], s72, v19
	v_cndmask_b32_e64 v24, 0, -1, s[6:7]
	v_cmp_le_u32_e64 s[6:7], s73, v22
	v_cndmask_b32_e64 v22, 0, -1, s[6:7]
	v_cmp_eq_u32_e64 s[6:7], s72, v19
	v_cndmask_b32_e64 v19, v24, v22, s[6:7]
	v_add_co_u32_e64 v22, s[6:7], 2, v6
	v_subb_co_u32_e32 v18, vcc, v18, v20, vcc
	v_addc_co_u32_e64 v24, s[6:7], 0, v21, s[6:7]
	v_cmp_le_u32_e32 vcc, s72, v18
	v_add_co_u32_e64 v25, s[6:7], 1, v6
	v_cndmask_b32_e64 v20, 0, -1, vcc
	v_cmp_le_u32_e32 vcc, s73, v17
	v_addc_co_u32_e64 v26, s[6:7], 0, v21, s[6:7]
	v_cndmask_b32_e64 v17, 0, -1, vcc
	v_cmp_eq_u32_e32 vcc, s72, v18
	v_cmp_ne_u32_e64 s[6:7], 0, v19
	v_cndmask_b32_e32 v17, v20, v17, vcc
	v_cndmask_b32_e64 v19, v26, v24, s[6:7]
	v_cmp_ne_u32_e32 vcc, 0, v17
	v_cndmask_b32_e64 v17, v25, v22, s[6:7]
	v_cndmask_b32_e32 v20, v21, v19, vcc
	v_cndmask_b32_e32 v19, v6, v17, vcc
                                        ; implicit-def: $vgpr17
.LBB5_11:                               ;   in Loop: Header=BB5_9 Depth=2
	s_andn2_saveexec_b64 s[6:7], s[8:9]
	s_cbranch_execz .LBB5_13
; %bb.12:                               ;   in Loop: Header=BB5_9 Depth=2
	v_cvt_f32_u32_e32 v6, s73
	s_sub_i32 s8, 0, s73
	v_mov_b32_e32 v20, v5
	v_rcp_iflag_f32_e32 v6, v6
	v_mul_f32_e32 v6, 0x4f7ffffe, v6
	v_cvt_u32_f32_e32 v6, v6
	v_mul_lo_u32 v18, s8, v6
	v_mul_hi_u32 v18, v6, v18
	v_add_u32_e32 v6, v6, v18
	v_mul_hi_u32 v6, v17, v6
	v_mul_lo_u32 v18, v6, s73
	v_add_u32_e32 v19, 1, v6
	v_sub_u32_e32 v17, v17, v18
	v_subrev_u32_e32 v18, s73, v17
	v_cmp_le_u32_e32 vcc, s73, v17
	v_cndmask_b32_e32 v17, v17, v18, vcc
	v_cndmask_b32_e32 v6, v6, v19, vcc
	v_add_u32_e32 v18, 1, v6
	v_cmp_le_u32_e32 vcc, s73, v17
	v_cndmask_b32_e32 v19, v6, v18, vcc
.LBB5_13:                               ;   in Loop: Header=BB5_9 Depth=2
	s_or_b64 exec, exec, s[6:7]
	v_mad_i64_i32 v[21:22], s[6:7], s47, v43, 0
	v_mov_b32_e32 v18, s75
	v_ashrrev_i32_e32 v6, 31, v43
	v_add_co_u32_e32 v17, vcc, s74, v21
	v_addc_co_u32_e32 v18, vcc, v18, v22, vcc
	s_mov_b64 s[6:7], 0
.LBB5_14:                               ;   Parent Loop BB5_6 Depth=1
                                        ;     Parent Loop BB5_9 Depth=2
                                        ; =>    This Inner Loop Header: Depth=3
	v_mov_b32_e32 v24, s71
	v_add_co_u32_e32 v17, vcc, s80, v17
	v_addc_co_u32_e32 v18, vcc, v18, v24, vcc
	v_cmp_lt_i64_e32 vcc, -1, v[17:18]
	s_or_b64 s[6:7], vcc, s[6:7]
	s_andn2_b64 exec, exec, s[6:7]
	s_cbranch_execnz .LBB5_14
; %bb.15:                               ;   in Loop: Header=BB5_9 Depth=2
	s_or_b64 exec, exec, s[6:7]
	v_mov_b32_e32 v24, s67
	v_subrev_co_u32_e32 v21, vcc, s68, v21
	v_subb_co_u32_e32 v22, vcc, v22, v24, vcc
	v_mov_b32_e32 v24, s70
	v_add_co_u32_e32 v21, vcc, s69, v21
	v_addc_co_u32_e32 v22, vcc, v22, v24, vcc
	v_add_co_u32_e32 v19, vcc, v23, v19
	v_addc_co_u32_e32 v20, vcc, 0, v20, vcc
	v_mul_lo_u32 v24, v19, s31
	v_mul_lo_u32 v25, v20, s30
	v_mad_u64_u32 v[13:14], s[6:7], v19, s30, v[13:14]
	v_cmp_gt_i64_e32 vcc, s[24:25], v[21:22]
	v_mov_b32_e32 v23, s25
	v_mov_b32_e32 v19, s24
	v_cndmask_b32_e32 v20, v23, v22, vcc
	v_cndmask_b32_e32 v19, v19, v21, vcc
	v_add3_u32 v14, v25, v14, v24
	s_mov_b64 s[6:7], -1
	s_and_b64 vcc, exec, s[34:35]
	s_cbranch_vccnz .LBB5_18
; %bb.16:                               ;   in Loop: Header=BB5_9 Depth=2
	s_and_b64 vcc, exec, s[6:7]
	s_cbranch_vccnz .LBB5_64
.LBB5_17:                               ;   in Loop: Header=BB5_9 Depth=2
	s_and_saveexec_b64 s[6:7], s[4:5]
	s_cbranch_execz .LBB5_8
	s_branch .LBB5_76
.LBB5_18:                               ;   in Loop: Header=BB5_9 Depth=2
	v_ashrrev_i32_e32 v28, 31, v13
	v_mul_lo_u32 v23, s41, v13
	v_mul_lo_u32 v24, s40, v28
	v_mad_u64_u32 v[21:22], s[6:7], s40, v13, 0
	v_mov_b32_e32 v27, v13
	v_cmp_le_i64_e32 vcc, v[15:16], v[27:28]
	v_add3_u32 v22, v22, v24, v23
	v_lshlrev_b64 v[23:24], 2, v[21:22]
	v_ashrrev_i32_e32 v22, 31, v17
	v_mov_b32_e32 v21, v17
	v_cmp_le_i64_e64 s[10:11], v[19:20], v[21:22]
	v_add_co_u32_e64 v29, s[6:7], v36, v23
	v_mul_lo_u32 v51, s43, v21
	v_mul_lo_u32 v53, s42, v22
	v_addc_co_u32_e64 v30, s[6:7], v37, v24, s[6:7]
	s_or_b64 s[6:7], vcc, s[10:11]
	s_nor_b64 s[6:7], s[6:7], s[2:3]
	v_mov_b32_e32 v44, 0
	v_mov_b32_e32 v47, 0
	s_and_saveexec_b64 s[8:9], s[6:7]
	s_cbranch_execz .LBB5_20
; %bb.19:                               ;   in Loop: Header=BB5_9 Depth=2
	v_mad_u64_u32 v[23:24], s[6:7], s42, v21, 0
	v_add3_u32 v24, v24, v53, v51
	v_lshlrev_b64 v[23:24], 2, v[23:24]
	v_add_co_u32_e64 v23, s[6:7], v29, v23
	v_addc_co_u32_e64 v24, s[6:7], v30, v24, s[6:7]
	global_load_dword v47, v[23:24], off
.LBB5_20:                               ;   in Loop: Header=BB5_9 Depth=2
	s_or_b64 exec, exec, s[8:9]
	v_add_u32_e32 v23, s51, v17
	v_ashrrev_i32_e32 v24, 31, v23
	v_cmp_le_i64_e64 s[12:13], v[19:20], v[23:24]
	v_mul_lo_u32 v54, s43, v23
	v_mul_lo_u32 v55, s42, v24
	s_or_b64 s[6:7], vcc, s[12:13]
	s_nor_b64 s[6:7], s[6:7], s[2:3]
	s_and_saveexec_b64 s[8:9], s[6:7]
	s_cbranch_execz .LBB5_22
; %bb.21:                               ;   in Loop: Header=BB5_9 Depth=2
	v_mad_u64_u32 v[25:26], s[6:7], s42, v23, 0
	v_add3_u32 v26, v26, v55, v54
	v_lshlrev_b64 v[25:26], 2, v[25:26]
	v_add_co_u32_e64 v25, s[6:7], v29, v25
	v_addc_co_u32_e64 v26, s[6:7], v30, v26, s[6:7]
	global_load_dword v44, v[25:26], off
.LBB5_22:                               ;   in Loop: Header=BB5_9 Depth=2
	s_or_b64 exec, exec, s[8:9]
	v_add_u32_e32 v25, s51, v23
	v_ashrrev_i32_e32 v26, 31, v25
	v_cmp_le_i64_e64 s[14:15], v[19:20], v[25:26]
	v_mul_lo_u32 v56, s43, v25
	v_mul_lo_u32 v57, s42, v26
	s_or_b64 s[6:7], vcc, s[14:15]
	s_nor_b64 s[6:7], s[6:7], s[2:3]
	v_mov_b32_e32 v45, 0
	v_mov_b32_e32 v49, 0
	s_and_saveexec_b64 s[8:9], s[6:7]
	s_cbranch_execz .LBB5_24
; %bb.23:                               ;   in Loop: Header=BB5_9 Depth=2
	v_mad_u64_u32 v[31:32], s[6:7], s42, v25, 0
	v_add3_u32 v32, v32, v57, v56
	v_lshlrev_b64 v[31:32], 2, v[31:32]
	v_add_co_u32_e64 v29, s[6:7], v29, v31
	v_addc_co_u32_e64 v30, s[6:7], v30, v32, s[6:7]
	global_load_dword v49, v[29:30], off
.LBB5_24:                               ;   in Loop: Header=BB5_9 Depth=2
	s_or_b64 exec, exec, s[8:9]
	v_add_u32_e32 v29, s50, v13
	v_ashrrev_i32_e32 v30, 31, v29
	v_mul_lo_u32 v46, s41, v29
	v_mad_u64_u32 v[31:32], s[6:7], s40, v29, 0
	v_mul_lo_u32 v48, s40, v30
	v_cmp_le_i64_e64 s[6:7], v[15:16], v[29:30]
	v_add3_u32 v32, v32, v48, v46
	v_lshlrev_b64 v[31:32], 2, v[31:32]
	v_add_co_u32_e64 v31, s[8:9], v36, v31
	v_addc_co_u32_e64 v32, s[8:9], v37, v32, s[8:9]
	s_or_b64 s[8:9], s[6:7], s[10:11]
	s_nor_b64 s[8:9], s[8:9], s[2:3]
	s_and_saveexec_b64 s[16:17], s[8:9]
	s_cbranch_execz .LBB5_26
; %bb.25:                               ;   in Loop: Header=BB5_9 Depth=2
	v_mad_u64_u32 v[45:46], s[8:9], s42, v21, 0
	v_add3_u32 v46, v46, v53, v51
	v_lshlrev_b64 v[45:46], 2, v[45:46]
	v_add_co_u32_e64 v45, s[8:9], v31, v45
	v_addc_co_u32_e64 v46, s[8:9], v32, v46, s[8:9]
	global_load_dword v45, v[45:46], off
.LBB5_26:                               ;   in Loop: Header=BB5_9 Depth=2
	s_or_b64 exec, exec, s[16:17]
	s_or_b64 s[8:9], s[6:7], s[12:13]
	s_nor_b64 s[8:9], s[8:9], s[2:3]
	v_mov_b32_e32 v46, 0
	v_mov_b32_e32 v50, 0
	s_and_saveexec_b64 s[16:17], s[8:9]
	s_cbranch_execz .LBB5_28
; %bb.27:                               ;   in Loop: Header=BB5_9 Depth=2
	v_mad_u64_u32 v[58:59], s[8:9], s42, v23, 0
	v_add3_u32 v59, v59, v55, v54
	v_lshlrev_b64 v[58:59], 2, v[58:59]
	v_add_co_u32_e64 v58, s[8:9], v31, v58
	v_addc_co_u32_e64 v59, s[8:9], v32, v59, s[8:9]
	global_load_dword v50, v[58:59], off
.LBB5_28:                               ;   in Loop: Header=BB5_9 Depth=2
	s_or_b64 exec, exec, s[16:17]
	s_or_b64 s[8:9], s[6:7], s[14:15]
	s_nor_b64 s[8:9], s[8:9], s[2:3]
	s_and_saveexec_b64 s[16:17], s[8:9]
	s_cbranch_execz .LBB5_30
; %bb.29:                               ;   in Loop: Header=BB5_9 Depth=2
	v_mad_u64_u32 v[58:59], s[8:9], s42, v25, 0
	v_add3_u32 v59, v59, v57, v56
	v_lshlrev_b64 v[58:59], 2, v[58:59]
	v_add_co_u32_e64 v31, s[8:9], v31, v58
	v_addc_co_u32_e64 v32, s[8:9], v32, v59, s[8:9]
	global_load_dword v46, v[31:32], off
.LBB5_30:                               ;   in Loop: Header=BB5_9 Depth=2
	s_or_b64 exec, exec, s[16:17]
	v_add_u32_e32 v31, s50, v29
	v_ashrrev_i32_e32 v32, 31, v31
	v_mul_lo_u32 v48, s41, v31
	v_mad_u64_u32 v[58:59], s[8:9], s40, v31, 0
	v_mul_lo_u32 v52, s40, v32
	v_cmp_le_i64_e64 s[8:9], v[15:16], v[31:32]
	v_add3_u32 v59, v59, v52, v48
	v_lshlrev_b64 v[58:59], 2, v[58:59]
	v_mov_b32_e32 v48, 0
	v_add_co_u32_e64 v58, s[16:17], v36, v58
	v_addc_co_u32_e64 v59, s[16:17], v37, v59, s[16:17]
	s_or_b64 s[16:17], s[8:9], s[10:11]
	s_nor_b64 s[16:17], s[16:17], s[2:3]
	v_mov_b32_e32 v52, 0
	s_and_saveexec_b64 s[56:57], s[16:17]
	s_cbranch_execz .LBB5_32
; %bb.31:                               ;   in Loop: Header=BB5_9 Depth=2
	v_mad_u64_u32 v[60:61], s[16:17], s42, v21, 0
	v_add3_u32 v61, v61, v53, v51
	v_lshlrev_b64 v[51:52], 2, v[60:61]
	v_add_co_u32_e64 v51, s[16:17], v58, v51
	v_addc_co_u32_e64 v52, s[16:17], v59, v52, s[16:17]
	global_load_dword v52, v[51:52], off
.LBB5_32:                               ;   in Loop: Header=BB5_9 Depth=2
	s_or_b64 exec, exec, s[56:57]
	s_or_b64 s[16:17], s[8:9], s[12:13]
	s_nor_b64 s[16:17], s[16:17], s[2:3]
	s_and_saveexec_b64 s[56:57], s[16:17]
	s_cbranch_execz .LBB5_34
; %bb.33:                               ;   in Loop: Header=BB5_9 Depth=2
	v_mad_u64_u32 v[60:61], s[16:17], s42, v23, 0
	v_add3_u32 v61, v61, v55, v54
	v_lshlrev_b64 v[53:54], 2, v[60:61]
	v_add_co_u32_e64 v53, s[16:17], v58, v53
	v_addc_co_u32_e64 v54, s[16:17], v59, v54, s[16:17]
	global_load_dword v48, v[53:54], off
.LBB5_34:                               ;   in Loop: Header=BB5_9 Depth=2
	s_or_b64 exec, exec, s[56:57]
	s_or_b64 s[16:17], s[8:9], s[14:15]
	s_nor_b64 s[16:17], s[16:17], s[2:3]
	v_mov_b32_e32 v51, 0
	s_and_saveexec_b64 s[56:57], s[16:17]
	s_cbranch_execz .LBB5_36
; %bb.35:                               ;   in Loop: Header=BB5_9 Depth=2
	v_mad_u64_u32 v[53:54], s[16:17], s42, v25, 0
	v_add3_u32 v54, v54, v57, v56
	v_lshlrev_b64 v[53:54], 2, v[53:54]
	v_add_co_u32_e64 v53, s[16:17], v58, v53
	v_addc_co_u32_e64 v54, s[16:17], v59, v54, s[16:17]
	global_load_dword v51, v[53:54], off
.LBB5_36:                               ;   in Loop: Header=BB5_9 Depth=2
	s_or_b64 exec, exec, s[56:57]
	v_mul_lo_u32 v53, s25, v27
	v_mul_lo_u32 v54, s24, v28
	v_mad_u64_u32 v[27:28], s[16:17], s24, v27, 0
	s_or_b64 s[56:57], s[2:3], s[10:11]
	s_nor_b64 s[10:11], vcc, s[56:57]
	v_add3_u32 v28, v28, v54, v53
	s_and_saveexec_b64 s[58:59], s[10:11]
	s_cbranch_execz .LBB5_39
; %bb.37:                               ;   in Loop: Header=BB5_9 Depth=2
	ds_read_b32 v53, v39
	s_waitcnt vmcnt(0)
	v_cmp_u_f32_e64 s[16:17], v47, v47
	s_waitcnt lgkmcnt(0)
	v_cmp_gt_f32_e64 s[10:11], v47, v53
	s_or_b64 s[10:11], s[16:17], s[10:11]
	s_and_b64 exec, exec, s[10:11]
	s_cbranch_execz .LBB5_39
; %bb.38:                               ;   in Loop: Header=BB5_9 Depth=2
	v_add_co_u32_e64 v53, s[10:11], v27, v21
	v_addc_co_u32_e64 v54, s[10:11], v28, v22, s[10:11]
	ds_write_b32 v39, v47
	ds_write_b64 v0, v[53:54]
.LBB5_39:                               ;   in Loop: Header=BB5_9 Depth=2
	s_or_b64 exec, exec, s[58:59]
	s_or_b64 s[16:17], s[2:3], s[12:13]
	s_nor_b64 s[10:11], vcc, s[16:17]
	s_and_saveexec_b64 s[58:59], s[10:11]
	s_cbranch_execz .LBB5_42
; %bb.40:                               ;   in Loop: Header=BB5_9 Depth=2
	s_waitcnt vmcnt(0)
	ds_read_b32 v47, v39
	v_cmp_u_f32_e64 s[12:13], v44, v44
	s_waitcnt lgkmcnt(0)
	v_cmp_gt_f32_e64 s[10:11], v44, v47
	s_or_b64 s[10:11], s[12:13], s[10:11]
	s_and_b64 exec, exec, s[10:11]
	s_cbranch_execz .LBB5_42
; %bb.41:                               ;   in Loop: Header=BB5_9 Depth=2
	v_add_co_u32_e64 v53, s[10:11], v27, v23
	v_addc_co_u32_e64 v54, s[10:11], v28, v24, s[10:11]
	ds_write_b32 v39, v44
	ds_write_b64 v0, v[53:54]
.LBB5_42:                               ;   in Loop: Header=BB5_9 Depth=2
	s_or_b64 exec, exec, s[58:59]
	s_or_b64 s[12:13], s[2:3], s[14:15]
	s_nor_b64 s[10:11], vcc, s[12:13]
	s_and_saveexec_b64 s[14:15], s[10:11]
	s_cbranch_execz .LBB5_45
; %bb.43:                               ;   in Loop: Header=BB5_9 Depth=2
	s_waitcnt vmcnt(0)
	ds_read_b32 v44, v39
	v_cmp_u_f32_e64 s[10:11], v49, v49
	s_waitcnt lgkmcnt(0)
	v_cmp_gt_f32_e32 vcc, v49, v44
	s_or_b64 s[10:11], s[10:11], vcc
	s_and_b64 exec, exec, s[10:11]
	s_cbranch_execz .LBB5_45
; %bb.44:                               ;   in Loop: Header=BB5_9 Depth=2
	v_add_co_u32_e32 v27, vcc, v27, v25
	v_addc_co_u32_e32 v28, vcc, v28, v26, vcc
	ds_write_b32 v39, v49
	ds_write_b64 v0, v[27:28]
.LBB5_45:                               ;   in Loop: Header=BB5_9 Depth=2
	s_or_b64 exec, exec, s[14:15]
	s_waitcnt vmcnt(0)
	v_mul_lo_u32 v44, s25, v29
	v_mul_lo_u32 v30, s24, v30
	v_mad_u64_u32 v[27:28], s[10:11], s24, v29, 0
	s_nor_b64 s[10:11], s[6:7], s[56:57]
	v_add3_u32 v28, v28, v30, v44
	s_and_saveexec_b64 s[14:15], s[10:11]
	s_cbranch_execz .LBB5_48
; %bb.46:                               ;   in Loop: Header=BB5_9 Depth=2
	ds_read_b32 v29, v39
	v_cmp_u_f32_e64 s[10:11], v45, v45
	s_waitcnt lgkmcnt(0)
	v_cmp_gt_f32_e32 vcc, v45, v29
	s_or_b64 s[10:11], s[10:11], vcc
	s_and_b64 exec, exec, s[10:11]
	s_cbranch_execz .LBB5_48
; %bb.47:                               ;   in Loop: Header=BB5_9 Depth=2
	v_add_co_u32_e32 v29, vcc, v27, v21
	v_addc_co_u32_e32 v30, vcc, v28, v22, vcc
	ds_write_b32 v39, v45
	ds_write_b64 v0, v[29:30]
.LBB5_48:                               ;   in Loop: Header=BB5_9 Depth=2
	s_or_b64 exec, exec, s[14:15]
	s_nor_b64 s[10:11], s[6:7], s[16:17]
	s_and_saveexec_b64 s[14:15], s[10:11]
	s_cbranch_execz .LBB5_51
; %bb.49:                               ;   in Loop: Header=BB5_9 Depth=2
	ds_read_b32 v29, v39
	v_cmp_u_f32_e64 s[10:11], v50, v50
	s_waitcnt lgkmcnt(0)
	v_cmp_gt_f32_e32 vcc, v50, v29
	s_or_b64 s[10:11], s[10:11], vcc
	s_and_b64 exec, exec, s[10:11]
	s_cbranch_execz .LBB5_51
; %bb.50:                               ;   in Loop: Header=BB5_9 Depth=2
	v_add_co_u32_e32 v29, vcc, v27, v23
	v_addc_co_u32_e32 v30, vcc, v28, v24, vcc
	ds_write_b32 v39, v50
	ds_write_b64 v0, v[29:30]
.LBB5_51:                               ;   in Loop: Header=BB5_9 Depth=2
	s_or_b64 exec, exec, s[14:15]
	s_nor_b64 s[6:7], s[6:7], s[12:13]
	s_and_saveexec_b64 s[10:11], s[6:7]
	s_cbranch_execz .LBB5_54
; %bb.52:                               ;   in Loop: Header=BB5_9 Depth=2
	ds_read_b32 v29, v39
	v_cmp_u_f32_e64 s[6:7], v46, v46
	s_waitcnt lgkmcnt(0)
	v_cmp_gt_f32_e32 vcc, v46, v29
	s_or_b64 s[6:7], s[6:7], vcc
	s_and_b64 exec, exec, s[6:7]
	s_cbranch_execz .LBB5_54
; %bb.53:                               ;   in Loop: Header=BB5_9 Depth=2
	v_add_co_u32_e32 v27, vcc, v27, v25
	v_addc_co_u32_e32 v28, vcc, v28, v26, vcc
	ds_write_b32 v39, v46
	ds_write_b64 v0, v[27:28]
.LBB5_54:                               ;   in Loop: Header=BB5_9 Depth=2
	s_or_b64 exec, exec, s[10:11]
	v_mul_lo_u32 v29, s25, v31
	v_mul_lo_u32 v30, s24, v32
	v_mad_u64_u32 v[27:28], s[6:7], s24, v31, 0
	s_nor_b64 s[6:7], s[8:9], s[56:57]
	v_add3_u32 v28, v28, v30, v29
	s_and_saveexec_b64 s[10:11], s[6:7]
	s_cbranch_execz .LBB5_57
; %bb.55:                               ;   in Loop: Header=BB5_9 Depth=2
	ds_read_b32 v29, v39
	v_cmp_u_f32_e64 s[6:7], v52, v52
	s_waitcnt lgkmcnt(0)
	v_cmp_gt_f32_e32 vcc, v52, v29
	s_or_b64 s[6:7], s[6:7], vcc
	s_and_b64 exec, exec, s[6:7]
	s_cbranch_execz .LBB5_57
; %bb.56:                               ;   in Loop: Header=BB5_9 Depth=2
	v_add_co_u32_e32 v21, vcc, v27, v21
	v_addc_co_u32_e32 v22, vcc, v28, v22, vcc
	ds_write_b32 v39, v52
	ds_write_b64 v0, v[21:22]
.LBB5_57:                               ;   in Loop: Header=BB5_9 Depth=2
	s_or_b64 exec, exec, s[10:11]
	s_nor_b64 s[6:7], s[8:9], s[16:17]
	s_and_saveexec_b64 s[10:11], s[6:7]
	s_cbranch_execz .LBB5_60
; %bb.58:                               ;   in Loop: Header=BB5_9 Depth=2
	ds_read_b32 v21, v39
	v_cmp_u_f32_e64 s[6:7], v48, v48
	s_waitcnt lgkmcnt(0)
	v_cmp_gt_f32_e32 vcc, v48, v21
	s_or_b64 s[6:7], s[6:7], vcc
	s_and_b64 exec, exec, s[6:7]
	s_cbranch_execz .LBB5_60
; %bb.59:                               ;   in Loop: Header=BB5_9 Depth=2
	v_add_co_u32_e32 v21, vcc, v27, v23
	v_addc_co_u32_e32 v22, vcc, v28, v24, vcc
	ds_write_b32 v39, v48
	ds_write_b64 v0, v[21:22]
.LBB5_60:                               ;   in Loop: Header=BB5_9 Depth=2
	s_or_b64 exec, exec, s[10:11]
	s_nor_b64 s[6:7], s[8:9], s[12:13]
	s_and_saveexec_b64 s[8:9], s[6:7]
	s_cbranch_execz .LBB5_63
; %bb.61:                               ;   in Loop: Header=BB5_9 Depth=2
	ds_read_b32 v21, v39
	v_cmp_u_f32_e64 s[6:7], v51, v51
	s_waitcnt lgkmcnt(0)
	v_cmp_gt_f32_e32 vcc, v51, v21
	s_or_b64 s[6:7], s[6:7], vcc
	s_and_b64 exec, exec, s[6:7]
	s_cbranch_execz .LBB5_63
; %bb.62:                               ;   in Loop: Header=BB5_9 Depth=2
	v_add_co_u32_e32 v21, vcc, v27, v25
	v_addc_co_u32_e32 v22, vcc, v28, v26, vcc
	ds_write_b32 v39, v51
	ds_write_b64 v0, v[21:22]
.LBB5_63:                               ;   in Loop: Header=BB5_9 Depth=2
	s_or_b64 exec, exec, s[8:9]
	s_branch .LBB5_17
.LBB5_64:                               ;   in Loop: Header=BB5_9 Depth=2
	v_cmp_lt_i64_e32 vcc, v[13:14], v[15:16]
	s_and_saveexec_b64 s[10:11], vcc
	s_cbranch_execz .LBB5_75
; %bb.65:                               ;   in Loop: Header=BB5_9 Depth=2
	v_cmp_lt_i64_e32 vcc, v[17:18], v[19:20]
	v_mov_b32_e32 v22, v14
	s_mov_b64 s[12:13], 0
	v_mov_b32_e32 v21, v13
	s_branch .LBB5_67
.LBB5_66:                               ;   in Loop: Header=BB5_67 Depth=3
	s_or_b64 exec, exec, s[14:15]
	v_mov_b32_e32 v23, s31
	v_add_co_u32_e64 v21, s[6:7], s30, v21
	v_addc_co_u32_e64 v22, s[6:7], v22, v23, s[6:7]
	v_cmp_ge_i64_e64 s[6:7], v[21:22], v[15:16]
	s_or_b64 s[12:13], s[6:7], s[12:13]
	s_andn2_b64 exec, exec, s[12:13]
	s_cbranch_execz .LBB5_75
.LBB5_67:                               ;   Parent Loop BB5_6 Depth=1
                                        ;     Parent Loop BB5_9 Depth=2
                                        ; =>    This Loop Header: Depth=3
                                        ;         Child Loop BB5_70 Depth 4
                                        ;           Child Loop BB5_73 Depth 5
	s_and_saveexec_b64 s[14:15], vcc
	s_cbranch_execz .LBB5_66
; %bb.68:                               ;   in Loop: Header=BB5_67 Depth=3
	v_mul_lo_u32 v25, v22, s40
	v_mul_lo_u32 v26, v21, s41
	v_mad_u64_u32 v[23:24], s[6:7], v21, s40, 0
	v_mul_lo_u32 v28, v22, s24
	v_mul_lo_u32 v29, v21, s25
	v_add3_u32 v24, v24, v26, v25
	v_lshlrev_b64 v[25:26], 2, v[23:24]
	v_mad_u64_u32 v[23:24], s[6:7], v21, s24, 0
	v_mov_b32_e32 v27, s62
	v_add_co_u32_e64 v44, s[6:7], s61, v25
	v_addc_co_u32_e64 v45, s[6:7], v27, v26, s[6:7]
	v_mov_b32_e32 v26, v18
	v_add3_u32 v24, v24, v29, v28
	s_mov_b64 s[16:17], 0
	v_mov_b32_e32 v25, v17
	s_branch .LBB5_70
.LBB5_69:                               ;   in Loop: Header=BB5_70 Depth=4
	s_or_b64 exec, exec, s[56:57]
	v_mov_b32_e32 v27, s71
	v_add_co_u32_e64 v25, s[6:7], s80, v25
	v_addc_co_u32_e64 v26, s[6:7], v26, v27, s[6:7]
	v_cmp_ge_i64_e64 s[6:7], v[25:26], v[19:20]
	s_or_b64 s[16:17], s[6:7], s[16:17]
	s_andn2_b64 exec, exec, s[16:17]
	s_cbranch_execz .LBB5_66
.LBB5_70:                               ;   Parent Loop BB5_6 Depth=1
                                        ;     Parent Loop BB5_9 Depth=2
                                        ;       Parent Loop BB5_67 Depth=3
                                        ; =>      This Loop Header: Depth=4
                                        ;           Child Loop BB5_73 Depth 5
	s_and_saveexec_b64 s[56:57], s[4:5]
	s_cbranch_execz .LBB5_69
; %bb.71:                               ;   in Loop: Header=BB5_70 Depth=4
	v_mul_lo_u32 v29, v26, s42
	v_mul_lo_u32 v30, v25, s43
	v_mad_u64_u32 v[27:28], s[6:7], v25, s42, 0
	v_mov_b32_e32 v32, v2
	s_mov_b64 s[58:59], 0
	v_add3_u32 v28, v28, v30, v29
	v_lshlrev_b64 v[27:28], 2, v[27:28]
	v_mov_b32_e32 v30, v4
	v_add_co_u32_e64 v46, s[6:7], v44, v27
	v_addc_co_u32_e64 v47, s[6:7], v45, v28, s[6:7]
	v_add_co_u32_e64 v27, s[6:7], v25, v23
	v_addc_co_u32_e64 v28, s[6:7], v26, v24, s[6:7]
	v_mov_b32_e32 v48, v41
	v_mov_b32_e32 v49, v40
	;; [unrolled: 1-line block ×4, first 2 shown]
	s_branch .LBB5_73
.LBB5_72:                               ;   in Loop: Header=BB5_73 Depth=5
	s_or_b64 exec, exec, s[6:7]
	v_mov_b32_e32 v50, s29
	v_add_co_u32_e64 v31, s[6:7], s28, v31
	v_addc_co_u32_e64 v32, s[6:7], v32, v50, s[6:7]
	v_mov_b32_e32 v50, s76
	v_add_co_u32_e64 v29, s[6:7], s77, v29
	v_addc_co_u32_e64 v30, s[6:7], v30, v50, s[6:7]
	v_cmp_le_i64_e64 s[6:7], s[20:21], v[31:32]
	v_add_u32_e32 v49, s78, v49
	s_or_b64 s[58:59], s[6:7], s[58:59]
	v_add_u32_e32 v48, s79, v48
	s_andn2_b64 exec, exec, s[58:59]
	s_cbranch_execz .LBB5_69
.LBB5_73:                               ;   Parent Loop BB5_6 Depth=1
                                        ;     Parent Loop BB5_9 Depth=2
                                        ;       Parent Loop BB5_67 Depth=3
                                        ;         Parent Loop BB5_70 Depth=4
                                        ; =>        This Inner Loop Header: Depth=5
	v_lshlrev_b64 v[50:51], 2, v[29:30]
	v_add_co_u32_e64 v50, s[6:7], v46, v50
	v_addc_co_u32_e64 v51, s[6:7], v47, v51, s[6:7]
	global_load_dword v50, v[50:51], off
	ds_read_b32 v51, v49
	s_waitcnt vmcnt(0) lgkmcnt(0)
	v_cmp_gt_f32_e64 s[6:7], v50, v51
	v_cmp_u_f32_e64 s[8:9], v50, v50
	s_or_b64 s[8:9], s[8:9], s[6:7]
	s_and_saveexec_b64 s[6:7], s[8:9]
	s_cbranch_execz .LBB5_72
; %bb.74:                               ;   in Loop: Header=BB5_73 Depth=5
	ds_write_b32 v49, v50
	ds_write_b64 v48, v[27:28]
	s_branch .LBB5_72
.LBB5_75:                               ;   in Loop: Header=BB5_9 Depth=2
	s_or_b64 exec, exec, s[10:11]
	s_and_saveexec_b64 s[6:7], s[4:5]
	s_cbranch_execz .LBB5_8
.LBB5_76:                               ;   in Loop: Header=BB5_9 Depth=2
	v_add_co_u32_e32 v19, vcc, v11, v43
	v_addc_co_u32_e32 v20, vcc, v12, v6, vcc
	v_lshlrev_b64 v[17:18], 3, v[19:20]
	v_mov_b32_e32 v6, s27
	v_add_co_u32_e32 v17, vcc, s26, v17
	v_lshlrev_b64 v[19:20], 2, v[19:20]
	v_addc_co_u32_e32 v6, vcc, v6, v18, vcc
	v_mov_b32_e32 v22, s37
	v_add_co_u32_e32 v19, vcc, s36, v19
	v_addc_co_u32_e32 v20, vcc, v22, v20, vcc
	v_mul_lo_u32 v6, s20, v6
	v_mul_lo_u32 v21, s21, v17
	v_mad_u64_u32 v[17:18], s[8:9], s20, v17, v[7:8]
	v_mul_lo_u32 v22, s20, v20
	v_mul_lo_u32 v23, s21, v19
	v_mad_u64_u32 v[19:20], s[8:9], s20, v19, v[9:10]
	v_add3_u32 v18, v21, v18, v6
	s_mov_b64 s[8:9], 0
	v_add3_u32 v20, v23, v20, v22
	v_mov_b32_e32 v22, v2
	v_mov_b32_e32 v23, v41
	;; [unrolled: 1-line block ×4, first 2 shown]
.LBB5_77:                               ;   Parent Loop BB5_6 Depth=1
                                        ;     Parent Loop BB5_9 Depth=2
                                        ; =>    This Inner Loop Header: Depth=3
	ds_read_b32 v27, v24
	ds_read_b64 v[25:26], v23
	v_mov_b32_e32 v28, s29
	v_add_co_u32_e32 v21, vcc, s28, v21
	v_addc_co_u32_e32 v22, vcc, v22, v28, vcc
	v_cmp_le_i64_e32 vcc, s[20:21], v[21:22]
	v_mov_b32_e32 v6, v5
	ds_write_b32 v24, v42
	v_mov_b32_e32 v29, s45
	ds_write_b64 v23, v[5:6]
	s_or_b64 s[8:9], vcc, s[8:9]
	s_waitcnt lgkmcnt(3)
	global_store_dword v[19:20], v27, off
	s_waitcnt lgkmcnt(2)
	global_store_dwordx2 v[17:18], v[25:26], off
	v_add_co_u32_e32 v17, vcc, s44, v17
	v_addc_co_u32_e32 v18, vcc, v18, v29, vcc
	v_mov_b32_e32 v30, s49
	v_add_co_u32_e32 v19, vcc, s48, v19
	v_add_u32_e32 v24, s78, v24
	v_add_u32_e32 v23, s79, v23
	v_addc_co_u32_e32 v20, vcc, v20, v30, vcc
	s_andn2_b64 exec, exec, s[8:9]
	s_cbranch_execnz .LBB5_77
	s_branch .LBB5_8
.LBB5_78:
	s_endpgm
	.section	.rodata,"a",@progbits
	.p2align	6, 0x0
	.amdhsa_kernel _ZN2at6native12_GLOBAL__N_121max_pool_forward_nhwcIflEEvPKT_iT0_S6_S6_S6_S6_iiiiiiiiS6_S6_S6_S6_iiPS3_Pl
		.amdhsa_group_segment_fixed_size 0
		.amdhsa_private_segment_fixed_size 0
		.amdhsa_kernarg_size 400
		.amdhsa_user_sgpr_count 6
		.amdhsa_user_sgpr_private_segment_buffer 1
		.amdhsa_user_sgpr_dispatch_ptr 0
		.amdhsa_user_sgpr_queue_ptr 0
		.amdhsa_user_sgpr_kernarg_segment_ptr 1
		.amdhsa_user_sgpr_dispatch_id 0
		.amdhsa_user_sgpr_flat_scratch_init 0
		.amdhsa_user_sgpr_private_segment_size 0
		.amdhsa_uses_dynamic_stack 0
		.amdhsa_system_sgpr_private_segment_wavefront_offset 0
		.amdhsa_system_sgpr_workgroup_id_x 1
		.amdhsa_system_sgpr_workgroup_id_y 1
		.amdhsa_system_sgpr_workgroup_id_z 1
		.amdhsa_system_sgpr_workgroup_info 0
		.amdhsa_system_vgpr_workitem_id 2
		.amdhsa_next_free_vgpr 62
		.amdhsa_next_free_sgpr 81
		.amdhsa_reserve_vcc 1
		.amdhsa_reserve_flat_scratch 0
		.amdhsa_float_round_mode_32 0
		.amdhsa_float_round_mode_16_64 0
		.amdhsa_float_denorm_mode_32 3
		.amdhsa_float_denorm_mode_16_64 3
		.amdhsa_dx10_clamp 1
		.amdhsa_ieee_mode 1
		.amdhsa_fp16_overflow 0
		.amdhsa_exception_fp_ieee_invalid_op 0
		.amdhsa_exception_fp_denorm_src 0
		.amdhsa_exception_fp_ieee_div_zero 0
		.amdhsa_exception_fp_ieee_overflow 0
		.amdhsa_exception_fp_ieee_underflow 0
		.amdhsa_exception_fp_ieee_inexact 0
		.amdhsa_exception_int_div_zero 0
	.end_amdhsa_kernel
	.section	.text._ZN2at6native12_GLOBAL__N_121max_pool_forward_nhwcIflEEvPKT_iT0_S6_S6_S6_S6_iiiiiiiiS6_S6_S6_S6_iiPS3_Pl,"axG",@progbits,_ZN2at6native12_GLOBAL__N_121max_pool_forward_nhwcIflEEvPKT_iT0_S6_S6_S6_S6_iiiiiiiiS6_S6_S6_S6_iiPS3_Pl,comdat
.Lfunc_end5:
	.size	_ZN2at6native12_GLOBAL__N_121max_pool_forward_nhwcIflEEvPKT_iT0_S6_S6_S6_S6_iiiiiiiiS6_S6_S6_S6_iiPS3_Pl, .Lfunc_end5-_ZN2at6native12_GLOBAL__N_121max_pool_forward_nhwcIflEEvPKT_iT0_S6_S6_S6_S6_iiiiiiiiS6_S6_S6_S6_iiPS3_Pl
                                        ; -- End function
	.set _ZN2at6native12_GLOBAL__N_121max_pool_forward_nhwcIflEEvPKT_iT0_S6_S6_S6_S6_iiiiiiiiS6_S6_S6_S6_iiPS3_Pl.num_vgpr, 62
	.set _ZN2at6native12_GLOBAL__N_121max_pool_forward_nhwcIflEEvPKT_iT0_S6_S6_S6_S6_iiiiiiiiS6_S6_S6_S6_iiPS3_Pl.num_agpr, 0
	.set _ZN2at6native12_GLOBAL__N_121max_pool_forward_nhwcIflEEvPKT_iT0_S6_S6_S6_S6_iiiiiiiiS6_S6_S6_S6_iiPS3_Pl.numbered_sgpr, 81
	.set _ZN2at6native12_GLOBAL__N_121max_pool_forward_nhwcIflEEvPKT_iT0_S6_S6_S6_S6_iiiiiiiiS6_S6_S6_S6_iiPS3_Pl.num_named_barrier, 0
	.set _ZN2at6native12_GLOBAL__N_121max_pool_forward_nhwcIflEEvPKT_iT0_S6_S6_S6_S6_iiiiiiiiS6_S6_S6_S6_iiPS3_Pl.private_seg_size, 0
	.set _ZN2at6native12_GLOBAL__N_121max_pool_forward_nhwcIflEEvPKT_iT0_S6_S6_S6_S6_iiiiiiiiS6_S6_S6_S6_iiPS3_Pl.uses_vcc, 1
	.set _ZN2at6native12_GLOBAL__N_121max_pool_forward_nhwcIflEEvPKT_iT0_S6_S6_S6_S6_iiiiiiiiS6_S6_S6_S6_iiPS3_Pl.uses_flat_scratch, 0
	.set _ZN2at6native12_GLOBAL__N_121max_pool_forward_nhwcIflEEvPKT_iT0_S6_S6_S6_S6_iiiiiiiiS6_S6_S6_S6_iiPS3_Pl.has_dyn_sized_stack, 0
	.set _ZN2at6native12_GLOBAL__N_121max_pool_forward_nhwcIflEEvPKT_iT0_S6_S6_S6_S6_iiiiiiiiS6_S6_S6_S6_iiPS3_Pl.has_recursion, 0
	.set _ZN2at6native12_GLOBAL__N_121max_pool_forward_nhwcIflEEvPKT_iT0_S6_S6_S6_S6_iiiiiiiiS6_S6_S6_S6_iiPS3_Pl.has_indirect_call, 0
	.section	.AMDGPU.csdata,"",@progbits
; Kernel info:
; codeLenInByte = 4780
; TotalNumSgprs: 85
; NumVgprs: 62
; ScratchSize: 0
; MemoryBound: 0
; FloatMode: 240
; IeeeMode: 1
; LDSByteSize: 0 bytes/workgroup (compile time only)
; SGPRBlocks: 10
; VGPRBlocks: 15
; NumSGPRsForWavesPerEU: 85
; NumVGPRsForWavesPerEU: 62
; Occupancy: 4
; WaveLimiterHint : 1
; COMPUTE_PGM_RSRC2:SCRATCH_EN: 0
; COMPUTE_PGM_RSRC2:USER_SGPR: 6
; COMPUTE_PGM_RSRC2:TRAP_HANDLER: 0
; COMPUTE_PGM_RSRC2:TGID_X_EN: 1
; COMPUTE_PGM_RSRC2:TGID_Y_EN: 1
; COMPUTE_PGM_RSRC2:TGID_Z_EN: 1
; COMPUTE_PGM_RSRC2:TIDIG_COMP_CNT: 2
	.section	.text._ZN2at6native12_GLOBAL__N_121max_pool_forward_nchwIfiEEvT0_PKT_llliiiiiiiiiiPS4_Pl,"axG",@progbits,_ZN2at6native12_GLOBAL__N_121max_pool_forward_nchwIfiEEvT0_PKT_llliiiiiiiiiiPS4_Pl,comdat
	.globl	_ZN2at6native12_GLOBAL__N_121max_pool_forward_nchwIfiEEvT0_PKT_llliiiiiiiiiiPS4_Pl ; -- Begin function _ZN2at6native12_GLOBAL__N_121max_pool_forward_nchwIfiEEvT0_PKT_llliiiiiiiiiiPS4_Pl
	.p2align	8
	.type	_ZN2at6native12_GLOBAL__N_121max_pool_forward_nchwIfiEEvT0_PKT_llliiiiiiiiiiPS4_Pl,@function
_ZN2at6native12_GLOBAL__N_121max_pool_forward_nchwIfiEEvT0_PKT_llliiiiiiiiiiPS4_Pl: ; @_ZN2at6native12_GLOBAL__N_121max_pool_forward_nchwIfiEEvT0_PKT_llliiiiiiiiiiPS4_Pl
; %bb.0:
	s_load_dword s24, s[4:5], 0x0
	s_load_dword s2, s[4:5], 0x6c
	v_mov_b32_e32 v1, 0
	v_mov_b32_e32 v2, s6
	s_waitcnt lgkmcnt(0)
	s_ashr_i32 s25, s24, 31
	s_add_u32 s0, s4, 0x60
	s_addc_u32 s1, s5, 0
	s_and_b32 s2, s2, 0xffff
	v_mad_u64_u32 v[0:1], s[6:7], s2, v2, v[0:1]
	v_cmp_gt_i64_e32 vcc, s[24:25], v[0:1]
	s_and_saveexec_b64 s[6:7], vcc
	s_cbranch_execz .LBB6_11
; %bb.1:
	s_load_dwordx8 s[8:15], s[4:5], 0x28
	s_load_dwordx2 s[6:7], s[4:5], 0x48
	s_load_dwordx2 s[26:27], s[4:5], 0x8
	s_load_dwordx4 s[16:19], s[4:5], 0x18
	s_load_dwordx4 s[20:23], s[4:5], 0x50
	s_load_dword s3, s[0:1], 0x0
	s_waitcnt lgkmcnt(0)
	s_abs_i32 s33, s9
	v_cvt_f32_u32_e32 v2, s33
	s_abs_i32 s50, s8
	s_max_u32 s49, s6, 1
	v_cvt_f32_u32_e32 v3, s50
	s_max_u32 s51, s7, 1
	v_cvt_f32_u32_e32 v5, s49
	v_rcp_iflag_f32_e32 v2, v2
	v_cvt_f32_u32_e32 v6, s51
	v_rcp_iflag_f32_e32 v3, v3
	v_rcp_iflag_f32_e32 v5, v5
	v_mul_f32_e32 v2, 0x4f7ffffe, v2
	v_rcp_iflag_f32_e32 v6, v6
	v_cvt_u32_f32_e32 v2, v2
	s_add_i32 s0, s10, -1
	v_mul_f32_e32 v3, 0x4f7ffffe, v3
	s_mul_i32 s46, s6, s0
	s_add_i32 s0, s11, -1
	v_cvt_u32_f32_e32 v3, v3
	v_mul_f32_e32 v5, 0x4f7ffffe, v5
	s_mul_i32 s47, s7, s0
	s_sub_i32 s0, 0, s33
	v_cvt_u32_f32_e32 v5, v5
	v_mul_f32_e32 v6, 0x4f7ffffe, v6
	v_mul_lo_u32 v4, s0, v2
	v_cvt_u32_f32_e32 v6, v6
	s_sub_i32 s0, 0, s50
	v_mul_lo_u32 v7, s0, v3
	s_sub_i32 s0, 0, s49
	v_mul_lo_u32 v9, s0, v5
	s_sub_i32 s0, 0, s51
	v_mul_hi_u32 v4, v2, v4
	v_mul_lo_u32 v10, s0, v6
	s_mul_i32 s0, s18, s17
	s_mul_hi_u32 s1, s18, s16
	s_add_i32 s0, s1, s0
	s_mul_i32 s1, s19, s16
	s_add_i32 s1, s0, s1
	s_mul_i32 s0, s18, s16
	v_add_u32_e32 v8, v2, v4
	v_mul_hi_u32 v2, v3, v7
	v_mul_hi_u32 v4, v5, v9
	;; [unrolled: 1-line block ×3, first 2 shown]
	s_lshl_b64 s[10:11], s[0:1], 2
	s_ashr_i32 s0, s6, 31
	s_mul_hi_u32 s1, s18, s6
	s_mul_i32 s0, s18, s0
	s_add_i32 s0, s1, s0
	s_mul_i32 s1, s19, s6
	s_add_i32 s29, s0, s1
	s_mul_i32 s28, s6, s18
	s_ashr_i32 s1, s7, 31
	s_mov_b32 s0, s7
	s_add_i32 s46, s46, 1
	s_add_i32 s47, s47, 1
	s_mul_i32 s48, s3, s2
	s_ashr_i32 s52, s9, 31
	s_ashr_i32 s53, s8, 31
	v_add_u32_e32 v9, v3, v2
	v_add_u32_e32 v10, v5, v4
	;; [unrolled: 1-line block ×3, first 2 shown]
	s_sub_i32 s17, 0, s15
	s_lshl_b64 s[30:31], s[28:29], 2
	s_lshl_b64 s[34:35], s[0:1], 2
	s_mov_b64 s[36:37], 0
	s_branch .LBB6_4
.LBB6_2:                                ;   in Loop: Header=BB6_4 Depth=1
	s_or_b64 exec, exec, s[40:41]
.LBB6_3:                                ;   in Loop: Header=BB6_4 Depth=1
	s_or_b64 exec, exec, s[38:39]
	v_lshlrev_b64 v[3:4], 2, v[0:1]
	v_mov_b32_e32 v5, s21
	v_add_co_u32_e32 v3, vcc, s20, v3
	v_addc_co_u32_e32 v4, vcc, v5, v4, vcc
	global_store_dword v[3:4], v15, off
	v_lshlrev_b64 v[4:5], 3, v[0:1]
	v_add_co_u32_e32 v0, vcc, s48, v0
	v_addc_co_u32_e32 v1, vcc, 0, v1, vcc
	v_cmp_le_i64_e32 vcc, s[24:25], v[0:1]
	v_mov_b32_e32 v6, s23
	v_add_co_u32_e64 v4, s[0:1], s22, v4
	v_ashrrev_i32_e32 v3, 31, v2
	v_addc_co_u32_e64 v5, s[0:1], v6, v5, s[0:1]
	s_or_b64 s[36:37], vcc, s[36:37]
	global_store_dwordx2 v[4:5], v[2:3], off
	s_andn2_b64 exec, exec, s[36:37]
	s_cbranch_execz .LBB6_11
.LBB6_4:                                ; =>This Loop Header: Depth=1
                                        ;     Child Loop BB6_7 Depth 2
                                        ;       Child Loop BB6_9 Depth 3
	v_sub_u32_e32 v2, 0, v0
	v_max_i32_e32 v2, v0, v2
	v_mul_hi_u32 v3, v2, v8
	v_ashrrev_i32_e32 v5, 31, v0
	v_xor_b32_e32 v5, s52, v5
	v_mov_b32_e32 v15, 0xff800000
	v_mul_lo_u32 v4, v3, s33
	v_add_u32_e32 v6, 1, v3
	v_sub_u32_e32 v2, v2, v4
	v_cmp_le_u32_e32 vcc, s33, v2
	v_subrev_u32_e32 v4, s33, v2
	v_cndmask_b32_e32 v3, v3, v6, vcc
	v_cndmask_b32_e32 v2, v2, v4, vcc
	v_add_u32_e32 v4, 1, v3
	v_cmp_le_u32_e32 vcc, s33, v2
	v_cndmask_b32_e32 v2, v3, v4, vcc
	v_xor_b32_e32 v2, v2, v5
	v_sub_u32_e32 v2, v2, v5
	v_sub_u32_e32 v3, 0, v2
	v_max_i32_e32 v3, v2, v3
	v_mul_hi_u32 v4, v3, v9
	v_ashrrev_i32_e32 v6, 31, v2
	v_xor_b32_e32 v6, s53, v6
	v_mul_lo_u32 v5, v4, s50
	v_add_u32_e32 v7, 1, v4
	v_sub_u32_e32 v3, v3, v5
	v_cmp_le_u32_e32 vcc, s50, v3
	v_subrev_u32_e32 v5, s50, v3
	v_cndmask_b32_e32 v4, v4, v7, vcc
	v_cndmask_b32_e32 v3, v3, v5, vcc
	v_add_u32_e32 v5, 1, v4
	v_cmp_le_u32_e32 vcc, s50, v3
	v_cndmask_b32_e32 v3, v4, v5, vcc
	v_xor_b32_e32 v3, v3, v6
	v_sub_u32_e32 v5, v3, v6
	v_mul_lo_u32 v3, v5, s8
	v_mul_lo_u32 v4, v2, s9
	v_sub_u32_e32 v2, v2, v3
	v_mul_lo_u32 v3, v2, s12
	v_sub_u32_e32 v2, v0, v4
	v_mul_lo_u32 v7, v2, s13
	v_subrev_u32_e32 v2, s14, v3
	v_max_i32_e32 v4, 0, v2
	v_add_u32_e32 v4, s14, v4
	v_cmp_ne_u32_e32 vcc, v4, v3
	v_cndmask_b32_e64 v6, 0, 1, vcc
	v_add_u32_e32 v3, v3, v6
	v_sub_u32_e32 v3, v4, v3
	v_mul_hi_u32 v4, v3, v10
	v_subrev_u32_e32 v6, s15, v7
	v_max_i32_e32 v13, 0, v6
	v_add_u32_e32 v13, s15, v13
	v_mul_lo_u32 v12, v4, s49
	v_add_u32_e32 v14, 1, v4
	v_sub_u32_e32 v3, v3, v12
	v_cmp_le_u32_e64 s[0:1], s49, v3
	v_subrev_u32_e32 v12, s49, v3
	v_cndmask_b32_e64 v4, v4, v14, s[0:1]
	v_cndmask_b32_e64 v3, v3, v12, s[0:1]
	v_cmp_ne_u32_e64 s[0:1], v13, v7
	v_cndmask_b32_e64 v12, 0, 1, s[0:1]
	v_add_u32_e32 v12, v7, v12
	v_sub_u32_e32 v12, v13, v12
	v_mul_hi_u32 v13, v12, v11
	v_add_u32_e32 v14, 1, v4
	v_cmp_le_u32_e64 s[2:3], s49, v3
	v_cndmask_b32_e64 v3, v4, v14, s[2:3]
	v_mul_lo_u32 v14, v13, s51
	v_addc_co_u32_e32 v3, vcc, 0, v3, vcc
	v_mad_u64_u32 v[3:4], s[2:3], s6, v3, v[2:3]
	v_sub_u32_e32 v4, v12, v14
	v_add_u32_e32 v12, 1, v13
	v_cmp_le_u32_e32 vcc, s51, v4
	v_cndmask_b32_e32 v12, v13, v12, vcc
	v_subrev_u32_e32 v13, s51, v4
	v_cndmask_b32_e32 v4, v4, v13, vcc
	v_add_u32_e32 v13, 1, v12
	v_cmp_le_u32_e32 vcc, s51, v4
	v_cndmask_b32_e32 v4, v12, v13, vcc
	v_addc_co_u32_e64 v4, vcc, 0, v4, s[0:1]
	v_mul_lo_u32 v4, s7, v4
	v_mul_lo_u32 v12, v3, s18
	v_add_u32_e32 v2, s46, v2
	v_min_i32_e32 v13, s16, v2
	v_add_u32_e32 v14, v6, v4
	v_add_u32_e32 v2, v14, v12
	v_cmp_lt_i32_e32 vcc, v3, v13
	s_and_saveexec_b64 s[38:39], vcc
	s_cbranch_execz .LBB6_3
; %bb.5:                                ;   in Loop: Header=BB6_4 Depth=1
	v_add3_u32 v15, s17, v4, v7
	v_ashrrev_i32_e32 v17, 31, v3
	v_ashrrev_i32_e32 v16, 31, v15
	v_mad_u64_u32 v[15:16], s[0:1], s18, v3, v[15:16]
	v_mul_lo_u32 v4, s19, v3
	v_mul_lo_u32 v7, s18, v17
	v_ashrrev_i32_e32 v19, 31, v5
	v_add_u32_e32 v6, s47, v6
	s_mov_b64 s[40:41], 0
	v_add3_u32 v16, v4, v16, v7
	v_lshlrev_b64 v[15:16], 2, v[15:16]
	v_mul_lo_u32 v4, s11, v5
	v_mad_u64_u32 v[17:18], s[0:1], s10, v5, v[15:16]
	v_mul_lo_u32 v5, s10, v19
	v_min_i32_e32 v16, s18, v6
	v_mov_b32_e32 v6, s27
	v_cmp_lt_i32_e32 vcc, v14, v16
	v_add3_u32 v5, v4, v18, v5
	v_add_co_u32_e64 v4, s[0:1], s26, v17
	v_addc_co_u32_e64 v5, s[0:1], v6, v5, s[0:1]
	v_mov_b32_e32 v15, 0xff800000
	s_branch .LBB6_7
.LBB6_6:                                ;   in Loop: Header=BB6_7 Depth=2
	s_or_b64 exec, exec, s[42:43]
	v_mov_b32_e32 v6, s31
	v_add_co_u32_e64 v4, s[0:1], s30, v4
	v_add_u32_e32 v3, s6, v3
	v_addc_co_u32_e64 v5, s[0:1], v5, v6, s[0:1]
	v_cmp_ge_i32_e64 s[0:1], v3, v13
	s_or_b64 s[40:41], s[0:1], s[40:41]
	v_add_u32_e32 v12, s28, v12
	s_andn2_b64 exec, exec, s[40:41]
	s_cbranch_execz .LBB6_2
.LBB6_7:                                ;   Parent Loop BB6_4 Depth=1
                                        ; =>  This Loop Header: Depth=2
                                        ;       Child Loop BB6_9 Depth 3
	s_and_saveexec_b64 s[42:43], vcc
	s_cbranch_execz .LBB6_6
; %bb.8:                                ;   in Loop: Header=BB6_7 Depth=2
	v_mov_b32_e32 v7, v5
	s_mov_b64 s[44:45], 0
	v_mov_b32_e32 v6, v4
	v_mov_b32_e32 v17, v14
.LBB6_9:                                ;   Parent Loop BB6_4 Depth=1
                                        ;     Parent Loop BB6_7 Depth=2
                                        ; =>    This Inner Loop Header: Depth=3
	global_load_dword v18, v[6:7], off
	v_mov_b32_e32 v20, s35
	v_add_co_u32_e64 v6, s[0:1], s34, v6
	v_add_u32_e32 v19, v12, v17
	v_add_u32_e32 v17, s7, v17
	v_addc_co_u32_e64 v7, s[0:1], v7, v20, s[0:1]
	v_cmp_ge_i32_e64 s[0:1], v17, v16
	s_waitcnt vmcnt(0)
	v_cmp_gt_f32_e64 s[2:3], v18, v15
	v_cmp_u_f32_e64 s[4:5], v18, v18
	s_or_b64 s[2:3], s[2:3], s[4:5]
	v_cndmask_b32_e64 v15, v15, v18, s[2:3]
	s_or_b64 s[44:45], s[0:1], s[44:45]
	v_cndmask_b32_e64 v2, v2, v19, s[2:3]
	s_andn2_b64 exec, exec, s[44:45]
	s_cbranch_execnz .LBB6_9
; %bb.10:                               ;   in Loop: Header=BB6_7 Depth=2
	s_or_b64 exec, exec, s[44:45]
	s_branch .LBB6_6
.LBB6_11:
	s_endpgm
	.section	.rodata,"a",@progbits
	.p2align	6, 0x0
	.amdhsa_kernel _ZN2at6native12_GLOBAL__N_121max_pool_forward_nchwIfiEEvT0_PKT_llliiiiiiiiiiPS4_Pl
		.amdhsa_group_segment_fixed_size 0
		.amdhsa_private_segment_fixed_size 0
		.amdhsa_kernarg_size 352
		.amdhsa_user_sgpr_count 6
		.amdhsa_user_sgpr_private_segment_buffer 1
		.amdhsa_user_sgpr_dispatch_ptr 0
		.amdhsa_user_sgpr_queue_ptr 0
		.amdhsa_user_sgpr_kernarg_segment_ptr 1
		.amdhsa_user_sgpr_dispatch_id 0
		.amdhsa_user_sgpr_flat_scratch_init 0
		.amdhsa_user_sgpr_private_segment_size 0
		.amdhsa_uses_dynamic_stack 0
		.amdhsa_system_sgpr_private_segment_wavefront_offset 0
		.amdhsa_system_sgpr_workgroup_id_x 1
		.amdhsa_system_sgpr_workgroup_id_y 0
		.amdhsa_system_sgpr_workgroup_id_z 0
		.amdhsa_system_sgpr_workgroup_info 0
		.amdhsa_system_vgpr_workitem_id 0
		.amdhsa_next_free_vgpr 21
		.amdhsa_next_free_sgpr 54
		.amdhsa_reserve_vcc 1
		.amdhsa_reserve_flat_scratch 0
		.amdhsa_float_round_mode_32 0
		.amdhsa_float_round_mode_16_64 0
		.amdhsa_float_denorm_mode_32 3
		.amdhsa_float_denorm_mode_16_64 3
		.amdhsa_dx10_clamp 1
		.amdhsa_ieee_mode 1
		.amdhsa_fp16_overflow 0
		.amdhsa_exception_fp_ieee_invalid_op 0
		.amdhsa_exception_fp_denorm_src 0
		.amdhsa_exception_fp_ieee_div_zero 0
		.amdhsa_exception_fp_ieee_overflow 0
		.amdhsa_exception_fp_ieee_underflow 0
		.amdhsa_exception_fp_ieee_inexact 0
		.amdhsa_exception_int_div_zero 0
	.end_amdhsa_kernel
	.section	.text._ZN2at6native12_GLOBAL__N_121max_pool_forward_nchwIfiEEvT0_PKT_llliiiiiiiiiiPS4_Pl,"axG",@progbits,_ZN2at6native12_GLOBAL__N_121max_pool_forward_nchwIfiEEvT0_PKT_llliiiiiiiiiiPS4_Pl,comdat
.Lfunc_end6:
	.size	_ZN2at6native12_GLOBAL__N_121max_pool_forward_nchwIfiEEvT0_PKT_llliiiiiiiiiiPS4_Pl, .Lfunc_end6-_ZN2at6native12_GLOBAL__N_121max_pool_forward_nchwIfiEEvT0_PKT_llliiiiiiiiiiPS4_Pl
                                        ; -- End function
	.set _ZN2at6native12_GLOBAL__N_121max_pool_forward_nchwIfiEEvT0_PKT_llliiiiiiiiiiPS4_Pl.num_vgpr, 21
	.set _ZN2at6native12_GLOBAL__N_121max_pool_forward_nchwIfiEEvT0_PKT_llliiiiiiiiiiPS4_Pl.num_agpr, 0
	.set _ZN2at6native12_GLOBAL__N_121max_pool_forward_nchwIfiEEvT0_PKT_llliiiiiiiiiiPS4_Pl.numbered_sgpr, 54
	.set _ZN2at6native12_GLOBAL__N_121max_pool_forward_nchwIfiEEvT0_PKT_llliiiiiiiiiiPS4_Pl.num_named_barrier, 0
	.set _ZN2at6native12_GLOBAL__N_121max_pool_forward_nchwIfiEEvT0_PKT_llliiiiiiiiiiPS4_Pl.private_seg_size, 0
	.set _ZN2at6native12_GLOBAL__N_121max_pool_forward_nchwIfiEEvT0_PKT_llliiiiiiiiiiPS4_Pl.uses_vcc, 1
	.set _ZN2at6native12_GLOBAL__N_121max_pool_forward_nchwIfiEEvT0_PKT_llliiiiiiiiiiPS4_Pl.uses_flat_scratch, 0
	.set _ZN2at6native12_GLOBAL__N_121max_pool_forward_nchwIfiEEvT0_PKT_llliiiiiiiiiiPS4_Pl.has_dyn_sized_stack, 0
	.set _ZN2at6native12_GLOBAL__N_121max_pool_forward_nchwIfiEEvT0_PKT_llliiiiiiiiiiPS4_Pl.has_recursion, 0
	.set _ZN2at6native12_GLOBAL__N_121max_pool_forward_nchwIfiEEvT0_PKT_llliiiiiiiiiiPS4_Pl.has_indirect_call, 0
	.section	.AMDGPU.csdata,"",@progbits
; Kernel info:
; codeLenInByte = 1316
; TotalNumSgprs: 58
; NumVgprs: 21
; ScratchSize: 0
; MemoryBound: 0
; FloatMode: 240
; IeeeMode: 1
; LDSByteSize: 0 bytes/workgroup (compile time only)
; SGPRBlocks: 7
; VGPRBlocks: 5
; NumSGPRsForWavesPerEU: 58
; NumVGPRsForWavesPerEU: 21
; Occupancy: 10
; WaveLimiterHint : 0
; COMPUTE_PGM_RSRC2:SCRATCH_EN: 0
; COMPUTE_PGM_RSRC2:USER_SGPR: 6
; COMPUTE_PGM_RSRC2:TRAP_HANDLER: 0
; COMPUTE_PGM_RSRC2:TGID_X_EN: 1
; COMPUTE_PGM_RSRC2:TGID_Y_EN: 0
; COMPUTE_PGM_RSRC2:TGID_Z_EN: 0
; COMPUTE_PGM_RSRC2:TIDIG_COMP_CNT: 0
	.section	.text._ZN2at6native12_GLOBAL__N_121max_pool_forward_nchwIflEEvT0_PKT_llliiiiiiiiiiPS4_Pl,"axG",@progbits,_ZN2at6native12_GLOBAL__N_121max_pool_forward_nchwIflEEvT0_PKT_llliiiiiiiiiiPS4_Pl,comdat
	.globl	_ZN2at6native12_GLOBAL__N_121max_pool_forward_nchwIflEEvT0_PKT_llliiiiiiiiiiPS4_Pl ; -- Begin function _ZN2at6native12_GLOBAL__N_121max_pool_forward_nchwIflEEvT0_PKT_llliiiiiiiiiiPS4_Pl
	.p2align	8
	.type	_ZN2at6native12_GLOBAL__N_121max_pool_forward_nchwIflEEvT0_PKT_llliiiiiiiiiiPS4_Pl,@function
_ZN2at6native12_GLOBAL__N_121max_pool_forward_nchwIflEEvT0_PKT_llliiiiiiiiiiPS4_Pl: ; @_ZN2at6native12_GLOBAL__N_121max_pool_forward_nchwIflEEvT0_PKT_llliiiiiiiiiiPS4_Pl
; %bb.0:
	s_load_dword s2, s[4:5], 0x6c
	s_load_dwordx4 s[16:19], s[4:5], 0x0
	s_add_u32 s0, s4, 0x60
	v_mov_b32_e32 v2, 0
	s_addc_u32 s1, s5, 0
	s_waitcnt lgkmcnt(0)
	s_and_b32 s2, s2, 0xffff
	v_mov_b32_e32 v1, v2
	v_mov_b32_e32 v3, s6
	v_mad_u64_u32 v[0:1], s[6:7], s2, v3, v[0:1]
	v_cmp_gt_i64_e32 vcc, s[16:17], v[0:1]
	s_and_saveexec_b64 s[6:7], vcc
	s_cbranch_execz .LBB7_27
; %bb.1:
	s_load_dwordx8 s[8:15], s[4:5], 0x28
	s_load_dwordx4 s[20:23], s[4:5], 0x18
	s_load_dwordx2 s[6:7], s[4:5], 0x48
	s_load_dwordx4 s[24:27], s[4:5], 0x50
	s_load_dword s3, s[0:1], 0x0
	s_waitcnt lgkmcnt(0)
	s_add_i32 s0, s10, -1
	s_ashr_i32 s33, s9, 31
	s_mul_i32 s53, s6, s0
	s_add_i32 s0, s11, -1
	s_ashr_i32 s11, s6, 31
	s_mov_b32 s10, s6
	s_mul_i32 s54, s7, s0
	v_cmp_gt_u64_e64 s[0:1], s[10:11], 1
	s_ashr_i32 s44, s8, 31
	s_ashr_i32 s45, s12, 31
	;; [unrolled: 1-line block ×4, first 2 shown]
	s_mov_b32 s50, s13
	s_ashr_i32 s51, s15, 31
	s_add_i32 s53, s53, 1
	s_add_i32 s54, s54, 1
	s_ashr_i32 s13, s7, 31
	s_mov_b32 s46, s12
	s_mov_b32 s12, s7
	s_and_b64 s[0:1], s[0:1], exec
	v_cmp_gt_u64_e64 s[0:1], s[12:13], 1
	s_cselect_b32 s56, s11, 0
	s_cselect_b32 s57, s6, 1
	s_and_b64 s[0:1], s[0:1], exec
	s_mul_i32 s0, s22, s21
	s_mul_hi_u32 s1, s22, s20
	s_cselect_b32 s58, s13, 0
	s_cselect_b32 s59, s7, 1
	s_add_i32 s0, s1, s0
	s_mul_i32 s1, s23, s20
	s_add_i32 s1, s0, s1
	s_mul_i32 s0, s22, s20
	s_mov_b32 s48, s14
	s_mov_b32 s52, s15
	s_mul_i32 s55, s3, s2
	s_lshl_b64 s[14:15], s[0:1], 2
	s_lshl_b64 s[28:29], s[12:13], 2
	s_mov_b64 s[30:31], 0
	s_ashr_i32 s34, s33, 31
	s_branch .LBB7_4
.LBB7_2:                                ;   in Loop: Header=BB7_4 Depth=1
	s_or_b64 exec, exec, s[38:39]
.LBB7_3:                                ;   in Loop: Header=BB7_4 Depth=1
	s_or_b64 exec, exec, s[36:37]
	v_lshlrev_b64 v[3:4], 2, v[0:1]
	v_mov_b32_e32 v5, s25
	v_add_co_u32_e32 v3, vcc, s24, v3
	v_addc_co_u32_e32 v4, vcc, v5, v4, vcc
	global_store_dword v[3:4], v12, off
	v_lshlrev_b64 v[3:4], 3, v[0:1]
	v_add_co_u32_e32 v0, vcc, s55, v0
	v_addc_co_u32_e32 v1, vcc, 0, v1, vcc
	v_cmp_le_i64_e32 vcc, s[16:17], v[0:1]
	v_mov_b32_e32 v5, s27
	v_add_co_u32_e64 v3, s[0:1], s26, v3
	v_addc_co_u32_e64 v4, s[0:1], v5, v4, s[0:1]
	s_or_b64 s[30:31], vcc, s[30:31]
	global_store_dwordx2 v[3:4], v[9:10], off
	s_andn2_b64 exec, exec, s[30:31]
	s_cbranch_execz .LBB7_27
.LBB7_4:                                ; =>This Loop Header: Depth=1
                                        ;     Child Loop BB7_23 Depth 2
                                        ;       Child Loop BB7_25 Depth 3
	v_or_b32_e32 v3, s33, v1
	v_cmp_ne_u64_e32 vcc, 0, v[2:3]
                                        ; implicit-def: $vgpr6_vgpr7
	s_and_saveexec_b64 s[0:1], vcc
	s_xor_b64 s[2:3], exec, s[0:1]
	s_cbranch_execz .LBB7_6
; %bb.5:                                ;   in Loop: Header=BB7_4 Depth=1
	s_add_u32 s0, s9, s34
	s_mov_b32 s35, s34
	s_addc_u32 s1, s33, s34
	s_xor_b64 s[4:5], s[0:1], s[34:35]
	v_cvt_f32_u32_e32 v3, s4
	v_cvt_f32_u32_e32 v4, s5
	s_sub_u32 s21, 0, s4
	s_subb_u32 s35, 0, s5
	v_ashrrev_i32_e32 v7, 31, v1
	v_mac_f32_e32 v3, 0x4f800000, v4
	v_rcp_f32_e32 v3, v3
	v_mul_f32_e32 v3, 0x5f7ffffc, v3
	v_mul_f32_e32 v4, 0x2f800000, v3
	v_trunc_f32_e32 v4, v4
	v_mac_f32_e32 v3, 0xcf800000, v4
	v_cvt_u32_f32_e32 v4, v4
	v_cvt_u32_f32_e32 v3, v3
	v_readfirstlane_b32 s36, v4
	v_readfirstlane_b32 s0, v3
	s_mul_i32 s1, s21, s36
	s_mul_hi_u32 s38, s21, s0
	s_mul_i32 s37, s35, s0
	s_add_i32 s1, s38, s1
	s_add_i32 s1, s1, s37
	s_mul_i32 s39, s21, s0
	s_mul_i32 s38, s0, s1
	s_mul_hi_u32 s40, s0, s39
	s_mul_hi_u32 s37, s0, s1
	s_add_u32 s38, s40, s38
	s_addc_u32 s37, 0, s37
	s_mul_hi_u32 s41, s36, s39
	s_mul_i32 s39, s36, s39
	s_add_u32 s38, s38, s39
	s_mul_hi_u32 s40, s36, s1
	s_addc_u32 s37, s37, s41
	s_addc_u32 s38, s40, 0
	s_mul_i32 s1, s36, s1
	s_add_u32 s1, s37, s1
	s_addc_u32 s37, 0, s38
	s_add_u32 s38, s0, s1
	s_cselect_b64 s[0:1], -1, 0
	s_cmp_lg_u64 s[0:1], 0
	s_addc_u32 s36, s36, s37
	s_mul_i32 s0, s21, s36
	s_mul_hi_u32 s1, s21, s38
	s_add_i32 s0, s1, s0
	s_mul_i32 s35, s35, s38
	s_add_i32 s0, s0, s35
	s_mul_i32 s21, s21, s38
	s_mul_hi_u32 s35, s36, s21
	s_mul_i32 s37, s36, s21
	s_mul_i32 s40, s38, s0
	s_mul_hi_u32 s21, s38, s21
	s_mul_hi_u32 s39, s38, s0
	s_add_u32 s21, s21, s40
	s_addc_u32 s39, 0, s39
	s_add_u32 s21, s21, s37
	s_mul_hi_u32 s1, s36, s0
	s_addc_u32 s21, s39, s35
	s_addc_u32 s1, s1, 0
	s_mul_i32 s0, s36, s0
	s_add_u32 s0, s21, s0
	s_addc_u32 s21, 0, s1
	s_add_u32 s35, s38, s0
	s_cselect_b64 s[0:1], -1, 0
	s_cmp_lg_u64 s[0:1], 0
	v_add_co_u32_e32 v3, vcc, v0, v7
	s_addc_u32 s21, s36, s21
	v_xor_b32_e32 v8, v3, v7
	v_mad_u64_u32 v[3:4], s[0:1], v8, s21, 0
	v_mul_hi_u32 v6, v8, s35
	v_addc_co_u32_e32 v5, vcc, v1, v7, vcc
	v_xor_b32_e32 v9, v5, v7
	v_add_co_u32_e32 v10, vcc, v6, v3
	v_addc_co_u32_e32 v11, vcc, 0, v4, vcc
	v_mad_u64_u32 v[3:4], s[0:1], v9, s35, 0
	v_mad_u64_u32 v[5:6], s[0:1], v9, s21, 0
	v_add_co_u32_e32 v3, vcc, v10, v3
	v_addc_co_u32_e32 v3, vcc, v11, v4, vcc
	v_addc_co_u32_e32 v4, vcc, 0, v6, vcc
	v_add_co_u32_e32 v5, vcc, v3, v5
	v_addc_co_u32_e32 v6, vcc, 0, v4, vcc
	v_mul_lo_u32 v10, s5, v5
	v_mul_lo_u32 v11, s4, v6
	v_mad_u64_u32 v[3:4], s[0:1], s4, v5, 0
	v_add3_u32 v4, v4, v11, v10
	v_sub_u32_e32 v10, v9, v4
	v_mov_b32_e32 v11, s5
	v_sub_co_u32_e32 v3, vcc, v8, v3
	v_subb_co_u32_e64 v8, s[0:1], v10, v11, vcc
	v_subrev_co_u32_e64 v10, s[0:1], s4, v3
	v_subbrev_co_u32_e64 v8, s[0:1], 0, v8, s[0:1]
	v_cmp_le_u32_e64 s[0:1], s5, v8
	v_cndmask_b32_e64 v11, 0, -1, s[0:1]
	v_cmp_le_u32_e64 s[0:1], s4, v10
	v_cndmask_b32_e64 v10, 0, -1, s[0:1]
	v_cmp_eq_u32_e64 s[0:1], s5, v8
	v_cndmask_b32_e64 v8, v11, v10, s[0:1]
	v_add_co_u32_e64 v10, s[0:1], 2, v5
	v_subb_co_u32_e32 v4, vcc, v9, v4, vcc
	v_addc_co_u32_e64 v11, s[0:1], 0, v6, s[0:1]
	v_cmp_le_u32_e32 vcc, s5, v4
	v_add_co_u32_e64 v12, s[0:1], 1, v5
	v_cndmask_b32_e64 v9, 0, -1, vcc
	v_cmp_le_u32_e32 vcc, s4, v3
	v_addc_co_u32_e64 v13, s[0:1], 0, v6, s[0:1]
	v_cndmask_b32_e64 v3, 0, -1, vcc
	v_cmp_eq_u32_e32 vcc, s5, v4
	v_cmp_ne_u32_e64 s[0:1], 0, v8
	v_cndmask_b32_e32 v3, v9, v3, vcc
	v_cmp_ne_u32_e32 vcc, 0, v3
	v_cndmask_b32_e64 v4, v12, v10, s[0:1]
	v_cndmask_b32_e64 v8, v13, v11, s[0:1]
	v_cndmask_b32_e32 v4, v5, v4, vcc
	v_xor_b32_e32 v5, s34, v7
	v_cndmask_b32_e32 v3, v6, v8, vcc
	v_xor_b32_e32 v4, v4, v5
	v_xor_b32_e32 v3, v3, v5
	v_sub_co_u32_e32 v6, vcc, v4, v5
	v_subb_co_u32_e32 v7, vcc, v3, v5, vcc
.LBB7_6:                                ;   in Loop: Header=BB7_4 Depth=1
	s_andn2_saveexec_b64 s[0:1], s[2:3]
	s_cbranch_execz .LBB7_8
; %bb.7:                                ;   in Loop: Header=BB7_4 Depth=1
	v_cvt_f32_u32_e32 v3, s9
	s_sub_i32 s2, 0, s9
	v_mov_b32_e32 v7, v2
	v_rcp_iflag_f32_e32 v3, v3
	v_mul_f32_e32 v3, 0x4f7ffffe, v3
	v_cvt_u32_f32_e32 v3, v3
	v_mul_lo_u32 v4, s2, v3
	v_mul_hi_u32 v4, v3, v4
	v_add_u32_e32 v3, v3, v4
	v_mul_hi_u32 v3, v0, v3
	v_mul_lo_u32 v4, v3, s9
	v_add_u32_e32 v5, 1, v3
	v_sub_u32_e32 v4, v0, v4
	v_subrev_u32_e32 v6, s9, v4
	v_cmp_le_u32_e32 vcc, s9, v4
	v_cndmask_b32_e32 v4, v4, v6, vcc
	v_cndmask_b32_e32 v3, v3, v5, vcc
	v_add_u32_e32 v5, 1, v3
	v_cmp_le_u32_e32 vcc, s9, v4
	v_cndmask_b32_e32 v6, v3, v5, vcc
.LBB7_8:                                ;   in Loop: Header=BB7_4 Depth=1
	s_or_b64 exec, exec, s[0:1]
	v_or_b32_e32 v3, s44, v7
	v_cmp_ne_u64_e32 vcc, 0, v[2:3]
                                        ; implicit-def: $vgpr4_vgpr5
	s_and_saveexec_b64 s[0:1], vcc
	s_xor_b64 s[2:3], exec, s[0:1]
	s_cbranch_execz .LBB7_10
; %bb.9:                                ;   in Loop: Header=BB7_4 Depth=1
	s_ashr_i32 s4, s44, 31
	s_add_u32 s0, s8, s4
	s_mov_b32 s5, s4
	s_addc_u32 s1, s44, s4
	s_xor_b64 s[36:37], s[0:1], s[4:5]
	v_cvt_f32_u32_e32 v3, s36
	v_cvt_f32_u32_e32 v4, s37
	s_sub_u32 s5, 0, s36
	s_subb_u32 s21, 0, s37
	v_ashrrev_i32_e32 v5, 31, v7
	v_mac_f32_e32 v3, 0x4f800000, v4
	v_rcp_f32_e32 v3, v3
	v_mul_f32_e32 v3, 0x5f7ffffc, v3
	v_mul_f32_e32 v4, 0x2f800000, v3
	v_trunc_f32_e32 v4, v4
	v_mac_f32_e32 v3, 0xcf800000, v4
	v_cvt_u32_f32_e32 v4, v4
	v_cvt_u32_f32_e32 v3, v3
	v_readfirstlane_b32 s35, v4
	v_readfirstlane_b32 s0, v3
	s_mul_i32 s1, s5, s35
	s_mul_hi_u32 s39, s5, s0
	s_mul_i32 s38, s21, s0
	s_add_i32 s1, s39, s1
	s_add_i32 s1, s1, s38
	s_mul_i32 s40, s5, s0
	s_mul_i32 s39, s0, s1
	s_mul_hi_u32 s41, s0, s40
	s_mul_hi_u32 s38, s0, s1
	s_add_u32 s39, s41, s39
	s_addc_u32 s38, 0, s38
	s_mul_hi_u32 s42, s35, s40
	s_mul_i32 s40, s35, s40
	s_add_u32 s39, s39, s40
	s_mul_hi_u32 s41, s35, s1
	s_addc_u32 s38, s38, s42
	s_addc_u32 s39, s41, 0
	s_mul_i32 s1, s35, s1
	s_add_u32 s1, s38, s1
	s_addc_u32 s38, 0, s39
	s_add_u32 s39, s0, s1
	s_cselect_b64 s[0:1], -1, 0
	s_cmp_lg_u64 s[0:1], 0
	s_addc_u32 s35, s35, s38
	s_mul_i32 s0, s5, s35
	s_mul_hi_u32 s1, s5, s39
	s_add_i32 s0, s1, s0
	s_mul_i32 s21, s21, s39
	s_add_i32 s0, s0, s21
	s_mul_i32 s5, s5, s39
	s_mul_hi_u32 s21, s35, s5
	s_mul_i32 s38, s35, s5
	s_mul_i32 s41, s39, s0
	s_mul_hi_u32 s5, s39, s5
	s_mul_hi_u32 s40, s39, s0
	s_add_u32 s5, s5, s41
	s_addc_u32 s40, 0, s40
	s_add_u32 s5, s5, s38
	s_mul_hi_u32 s1, s35, s0
	s_addc_u32 s5, s40, s21
	s_addc_u32 s1, s1, 0
	s_mul_i32 s0, s35, s0
	s_add_u32 s0, s5, s0
	s_addc_u32 s5, 0, s1
	s_add_u32 s21, s39, s0
	s_cselect_b64 s[0:1], -1, 0
	s_cmp_lg_u64 s[0:1], 0
	v_add_co_u32_e32 v3, vcc, v6, v5
	s_addc_u32 s5, s35, s5
	v_xor_b32_e32 v10, v3, v5
	v_mad_u64_u32 v[3:4], s[0:1], v10, s5, 0
	v_mul_hi_u32 v9, v10, s21
	v_addc_co_u32_e32 v8, vcc, v7, v5, vcc
	v_xor_b32_e32 v11, v8, v5
	v_add_co_u32_e32 v12, vcc, v9, v3
	v_addc_co_u32_e32 v13, vcc, 0, v4, vcc
	v_mad_u64_u32 v[3:4], s[0:1], v11, s21, 0
	v_mad_u64_u32 v[8:9], s[0:1], v11, s5, 0
	v_add_co_u32_e32 v3, vcc, v12, v3
	v_addc_co_u32_e32 v3, vcc, v13, v4, vcc
	v_addc_co_u32_e32 v4, vcc, 0, v9, vcc
	v_add_co_u32_e32 v8, vcc, v3, v8
	v_addc_co_u32_e32 v9, vcc, 0, v4, vcc
	v_mul_lo_u32 v12, s37, v8
	v_mul_lo_u32 v13, s36, v9
	v_mad_u64_u32 v[3:4], s[0:1], s36, v8, 0
	v_xor_b32_e32 v5, s4, v5
	v_add3_u32 v4, v4, v13, v12
	v_sub_u32_e32 v12, v11, v4
	v_mov_b32_e32 v13, s37
	v_sub_co_u32_e32 v3, vcc, v10, v3
	v_subb_co_u32_e64 v10, s[0:1], v12, v13, vcc
	v_subrev_co_u32_e64 v12, s[0:1], s36, v3
	v_subbrev_co_u32_e64 v10, s[0:1], 0, v10, s[0:1]
	v_cmp_le_u32_e64 s[0:1], s37, v10
	v_cndmask_b32_e64 v13, 0, -1, s[0:1]
	v_cmp_le_u32_e64 s[0:1], s36, v12
	v_cndmask_b32_e64 v12, 0, -1, s[0:1]
	v_cmp_eq_u32_e64 s[0:1], s37, v10
	v_cndmask_b32_e64 v10, v13, v12, s[0:1]
	v_add_co_u32_e64 v12, s[0:1], 2, v8
	v_subb_co_u32_e32 v4, vcc, v11, v4, vcc
	v_addc_co_u32_e64 v13, s[0:1], 0, v9, s[0:1]
	v_cmp_le_u32_e32 vcc, s37, v4
	v_add_co_u32_e64 v14, s[0:1], 1, v8
	v_cndmask_b32_e64 v11, 0, -1, vcc
	v_cmp_le_u32_e32 vcc, s36, v3
	v_addc_co_u32_e64 v15, s[0:1], 0, v9, s[0:1]
	v_cndmask_b32_e64 v3, 0, -1, vcc
	v_cmp_eq_u32_e32 vcc, s37, v4
	v_cmp_ne_u32_e64 s[0:1], 0, v10
	v_cndmask_b32_e32 v3, v11, v3, vcc
	v_cmp_ne_u32_e32 vcc, 0, v3
	v_cndmask_b32_e64 v4, v14, v12, s[0:1]
	v_cndmask_b32_e64 v10, v15, v13, s[0:1]
	v_cndmask_b32_e32 v4, v8, v4, vcc
	v_cndmask_b32_e32 v3, v9, v10, vcc
	v_xor_b32_e32 v4, v4, v5
	v_xor_b32_e32 v3, v3, v5
	v_sub_co_u32_e32 v4, vcc, v4, v5
	v_subb_co_u32_e32 v5, vcc, v3, v5, vcc
.LBB7_10:                               ;   in Loop: Header=BB7_4 Depth=1
	s_andn2_saveexec_b64 s[0:1], s[2:3]
	s_cbranch_execz .LBB7_12
; %bb.11:                               ;   in Loop: Header=BB7_4 Depth=1
	v_cvt_f32_u32_e32 v3, s8
	s_sub_i32 s2, 0, s8
	v_rcp_iflag_f32_e32 v3, v3
	v_mul_f32_e32 v3, 0x4f7ffffe, v3
	v_cvt_u32_f32_e32 v3, v3
	v_mul_lo_u32 v4, s2, v3
	v_mul_hi_u32 v4, v3, v4
	v_add_u32_e32 v3, v3, v4
	v_mul_hi_u32 v3, v6, v3
	v_mul_lo_u32 v4, v3, s8
	v_add_u32_e32 v5, 1, v3
	v_sub_u32_e32 v4, v6, v4
	v_subrev_u32_e32 v8, s8, v4
	v_cmp_le_u32_e32 vcc, s8, v4
	v_cndmask_b32_e32 v4, v4, v8, vcc
	v_cndmask_b32_e32 v3, v3, v5, vcc
	v_add_u32_e32 v5, 1, v3
	v_cmp_le_u32_e32 vcc, s8, v4
	v_cndmask_b32_e32 v4, v3, v5, vcc
	v_mov_b32_e32 v5, v2
.LBB7_12:                               ;   in Loop: Header=BB7_4 Depth=1
	s_or_b64 exec, exec, s[0:1]
	v_mul_lo_u32 v3, v5, s8
	v_mul_lo_u32 v10, v4, s44
	v_mad_u64_u32 v[8:9], s[0:1], v4, s8, 0
	v_add3_u32 v3, v9, v10, v3
	v_sub_co_u32_e32 v8, vcc, v6, v8
	v_subb_co_u32_e32 v3, vcc, v7, v3, vcc
	v_mul_lo_u32 v3, v3, s46
	v_mul_lo_u32 v9, v8, s45
	v_mad_u64_u32 v[10:11], s[0:1], v8, s46, 0
	v_add3_u32 v11, v11, v9, v3
	v_mov_b32_e32 v3, s47
	v_subrev_co_u32_e32 v8, vcc, s48, v10
	v_subb_co_u32_e32 v9, vcc, v11, v3, vcc
	v_cmp_lt_i64_e32 vcc, 0, v[8:9]
	v_cndmask_b32_e32 v13, 0, v8, vcc
	v_cndmask_b32_e32 v12, 0, v9, vcc
	v_add_co_u32_e32 v13, vcc, s48, v13
	v_addc_co_u32_e32 v14, vcc, v12, v3, vcc
	v_cmp_ne_u64_e32 vcc, v[13:14], v[10:11]
	v_cndmask_b32_e64 v12, 0, 1, vcc
	v_add_co_u32_e32 v3, vcc, v10, v12
	v_addc_co_u32_e32 v10, vcc, 0, v11, vcc
	v_sub_co_u32_e32 v13, vcc, v13, v3
	v_subb_co_u32_e32 v14, vcc, v14, v10, vcc
	v_or_b32_e32 v3, s56, v14
	v_cmp_ne_u64_e32 vcc, 0, v[2:3]
                                        ; implicit-def: $vgpr10_vgpr11
	s_and_saveexec_b64 s[0:1], vcc
	s_xor_b64 s[2:3], exec, s[0:1]
	s_cbranch_execz .LBB7_14
; %bb.13:                               ;   in Loop: Header=BB7_4 Depth=1
	v_cvt_f32_u32_e32 v3, s57
	v_cvt_f32_u32_e32 v10, s56
	s_sub_u32 s4, 0, s57
	s_subb_u32 s5, 0, s56
	v_mac_f32_e32 v3, 0x4f800000, v10
	v_rcp_f32_e32 v3, v3
	v_mul_f32_e32 v3, 0x5f7ffffc, v3
	v_mul_f32_e32 v10, 0x2f800000, v3
	v_trunc_f32_e32 v10, v10
	v_mac_f32_e32 v3, 0xcf800000, v10
	v_cvt_u32_f32_e32 v10, v10
	v_cvt_u32_f32_e32 v3, v3
	v_readfirstlane_b32 s21, v10
	v_readfirstlane_b32 s0, v3
	s_mul_i32 s1, s4, s21
	s_mul_hi_u32 s36, s4, s0
	s_mul_i32 s35, s5, s0
	s_add_i32 s1, s36, s1
	s_mul_i32 s37, s4, s0
	s_add_i32 s1, s1, s35
	s_mul_i32 s36, s0, s1
	s_mul_hi_u32 s38, s0, s37
	s_mul_hi_u32 s35, s0, s1
	s_add_u32 s36, s38, s36
	s_addc_u32 s35, 0, s35
	s_mul_hi_u32 s39, s21, s37
	s_mul_i32 s37, s21, s37
	s_add_u32 s36, s36, s37
	s_mul_hi_u32 s38, s21, s1
	s_addc_u32 s35, s35, s39
	s_addc_u32 s36, s38, 0
	s_mul_i32 s1, s21, s1
	s_add_u32 s1, s35, s1
	s_addc_u32 s35, 0, s36
	s_add_u32 s36, s0, s1
	s_cselect_b64 s[0:1], -1, 0
	s_cmp_lg_u64 s[0:1], 0
	s_addc_u32 s21, s21, s35
	s_mul_i32 s0, s4, s21
	s_mul_hi_u32 s1, s4, s36
	s_add_i32 s0, s1, s0
	s_mul_i32 s5, s5, s36
	s_add_i32 s0, s0, s5
	s_mul_i32 s4, s4, s36
	s_mul_hi_u32 s5, s21, s4
	s_mul_i32 s35, s21, s4
	s_mul_i32 s38, s36, s0
	s_mul_hi_u32 s4, s36, s4
	s_mul_hi_u32 s37, s36, s0
	s_add_u32 s4, s4, s38
	s_addc_u32 s37, 0, s37
	s_add_u32 s4, s4, s35
	s_mul_hi_u32 s1, s21, s0
	s_addc_u32 s4, s37, s5
	s_addc_u32 s1, s1, 0
	s_mul_i32 s0, s21, s0
	s_add_u32 s0, s4, s0
	s_addc_u32 s4, 0, s1
	s_add_u32 s5, s36, s0
	s_cselect_b64 s[0:1], -1, 0
	s_cmp_lg_u64 s[0:1], 0
	s_addc_u32 s4, s21, s4
	v_mad_u64_u32 v[10:11], s[0:1], v13, s4, 0
	v_mul_hi_u32 v3, v13, s5
	v_mad_u64_u32 v[15:16], s[0:1], v14, s4, 0
	v_add_co_u32_e32 v3, vcc, v3, v10
	v_addc_co_u32_e32 v17, vcc, 0, v11, vcc
	v_mad_u64_u32 v[10:11], s[0:1], v14, s5, 0
	v_add_co_u32_e32 v3, vcc, v3, v10
	v_addc_co_u32_e32 v3, vcc, v17, v11, vcc
	v_addc_co_u32_e32 v10, vcc, 0, v16, vcc
	v_add_co_u32_e32 v3, vcc, v3, v15
	v_addc_co_u32_e32 v15, vcc, 0, v10, vcc
	v_mul_lo_u32 v16, s56, v3
	v_mul_lo_u32 v17, s57, v15
	v_mad_u64_u32 v[10:11], s[0:1], s57, v3, 0
	v_add3_u32 v11, v11, v17, v16
	v_sub_u32_e32 v16, v14, v11
	v_mov_b32_e32 v17, s56
	v_sub_co_u32_e32 v10, vcc, v13, v10
	v_subb_co_u32_e64 v13, s[0:1], v16, v17, vcc
	v_subrev_co_u32_e64 v16, s[0:1], s57, v10
	v_subbrev_co_u32_e64 v13, s[0:1], 0, v13, s[0:1]
	v_cmp_le_u32_e64 s[0:1], s56, v13
	v_cndmask_b32_e64 v17, 0, -1, s[0:1]
	v_cmp_le_u32_e64 s[0:1], s57, v16
	v_cndmask_b32_e64 v16, 0, -1, s[0:1]
	v_cmp_eq_u32_e64 s[0:1], s56, v13
	v_cndmask_b32_e64 v13, v17, v16, s[0:1]
	v_add_co_u32_e64 v16, s[0:1], 2, v3
	v_subb_co_u32_e32 v11, vcc, v14, v11, vcc
	v_addc_co_u32_e64 v17, s[0:1], 0, v15, s[0:1]
	v_cmp_le_u32_e32 vcc, s56, v11
	v_add_co_u32_e64 v18, s[0:1], 1, v3
	v_cndmask_b32_e64 v14, 0, -1, vcc
	v_cmp_le_u32_e32 vcc, s57, v10
	v_addc_co_u32_e64 v19, s[0:1], 0, v15, s[0:1]
	v_cndmask_b32_e64 v10, 0, -1, vcc
	v_cmp_eq_u32_e32 vcc, s56, v11
	v_cmp_ne_u32_e64 s[0:1], 0, v13
	v_cndmask_b32_e32 v10, v14, v10, vcc
	v_cndmask_b32_e64 v13, v19, v17, s[0:1]
	v_cmp_ne_u32_e32 vcc, 0, v10
	v_cndmask_b32_e64 v10, v18, v16, s[0:1]
	v_cndmask_b32_e32 v11, v15, v13, vcc
	v_cndmask_b32_e32 v10, v3, v10, vcc
                                        ; implicit-def: $vgpr13
.LBB7_14:                               ;   in Loop: Header=BB7_4 Depth=1
	s_andn2_saveexec_b64 s[0:1], s[2:3]
	s_cbranch_execz .LBB7_16
; %bb.15:                               ;   in Loop: Header=BB7_4 Depth=1
	v_cvt_f32_u32_e32 v3, s57
	s_sub_i32 s2, 0, s57
	v_rcp_iflag_f32_e32 v3, v3
	v_mul_f32_e32 v3, 0x4f7ffffe, v3
	v_cvt_u32_f32_e32 v3, v3
	v_mul_lo_u32 v10, s2, v3
	v_mul_hi_u32 v10, v3, v10
	v_add_u32_e32 v3, v3, v10
	v_mul_hi_u32 v3, v13, v3
	v_mul_lo_u32 v10, v3, s57
	v_add_u32_e32 v11, 1, v3
	v_sub_u32_e32 v10, v13, v10
	v_subrev_u32_e32 v13, s57, v10
	v_cmp_le_u32_e32 vcc, s57, v10
	v_cndmask_b32_e32 v10, v10, v13, vcc
	v_cndmask_b32_e32 v3, v3, v11, vcc
	v_add_u32_e32 v11, 1, v3
	v_cmp_le_u32_e32 vcc, s57, v10
	v_cndmask_b32_e32 v10, v3, v11, vcc
	v_mov_b32_e32 v11, v2
.LBB7_16:                               ;   in Loop: Header=BB7_4 Depth=1
	s_or_b64 exec, exec, s[0:1]
	v_mul_lo_u32 v3, v7, s9
	v_mul_lo_u32 v13, v6, s33
	v_mad_u64_u32 v[6:7], s[0:1], v6, s9, 0
	v_add3_u32 v3, v7, v13, v3
	v_sub_co_u32_e32 v6, vcc, v0, v6
	v_subb_co_u32_e32 v3, vcc, v1, v3, vcc
	v_mul_lo_u32 v3, v3, s50
	v_mul_lo_u32 v7, v6, s49
	v_mad_u64_u32 v[13:14], s[0:1], v6, s50, 0
	v_add3_u32 v14, v14, v7, v3
	v_mov_b32_e32 v3, s51
	v_subrev_co_u32_e32 v6, vcc, s52, v13
	v_subb_co_u32_e32 v7, vcc, v14, v3, vcc
	v_cmp_lt_i64_e32 vcc, 0, v[6:7]
	v_cndmask_b32_e32 v16, 0, v6, vcc
	v_cndmask_b32_e32 v15, 0, v7, vcc
	v_add_co_u32_e32 v16, vcc, s52, v16
	v_addc_co_u32_e32 v17, vcc, v15, v3, vcc
	v_cmp_ne_u64_e32 vcc, v[16:17], v[13:14]
	v_cndmask_b32_e64 v15, 0, 1, vcc
	v_add_co_u32_e32 v3, vcc, v13, v15
	v_addc_co_u32_e32 v13, vcc, 0, v14, vcc
	v_sub_co_u32_e32 v16, vcc, v16, v3
	v_subb_co_u32_e32 v17, vcc, v17, v13, vcc
	v_or_b32_e32 v3, s58, v17
	v_cmp_ne_u64_e32 vcc, 0, v[2:3]
                                        ; implicit-def: $vgpr13_vgpr14
	s_and_saveexec_b64 s[0:1], vcc
	s_xor_b64 s[2:3], exec, s[0:1]
	s_cbranch_execz .LBB7_18
; %bb.17:                               ;   in Loop: Header=BB7_4 Depth=1
	v_cvt_f32_u32_e32 v3, s59
	v_cvt_f32_u32_e32 v13, s58
	s_sub_u32 s4, 0, s59
	s_subb_u32 s5, 0, s58
	v_mac_f32_e32 v3, 0x4f800000, v13
	v_rcp_f32_e32 v3, v3
	v_mul_f32_e32 v3, 0x5f7ffffc, v3
	v_mul_f32_e32 v13, 0x2f800000, v3
	v_trunc_f32_e32 v13, v13
	v_mac_f32_e32 v3, 0xcf800000, v13
	v_cvt_u32_f32_e32 v13, v13
	v_cvt_u32_f32_e32 v3, v3
	v_readfirstlane_b32 s21, v13
	v_readfirstlane_b32 s0, v3
	s_mul_i32 s1, s4, s21
	s_mul_hi_u32 s36, s4, s0
	s_mul_i32 s35, s5, s0
	s_add_i32 s1, s36, s1
	s_mul_i32 s37, s4, s0
	s_add_i32 s1, s1, s35
	s_mul_i32 s36, s0, s1
	s_mul_hi_u32 s38, s0, s37
	s_mul_hi_u32 s35, s0, s1
	s_add_u32 s36, s38, s36
	s_addc_u32 s35, 0, s35
	s_mul_hi_u32 s39, s21, s37
	s_mul_i32 s37, s21, s37
	s_add_u32 s36, s36, s37
	s_mul_hi_u32 s38, s21, s1
	s_addc_u32 s35, s35, s39
	s_addc_u32 s36, s38, 0
	s_mul_i32 s1, s21, s1
	s_add_u32 s1, s35, s1
	s_addc_u32 s35, 0, s36
	s_add_u32 s36, s0, s1
	s_cselect_b64 s[0:1], -1, 0
	s_cmp_lg_u64 s[0:1], 0
	s_addc_u32 s21, s21, s35
	s_mul_i32 s0, s4, s21
	s_mul_hi_u32 s1, s4, s36
	s_add_i32 s0, s1, s0
	s_mul_i32 s5, s5, s36
	s_add_i32 s0, s0, s5
	s_mul_i32 s4, s4, s36
	s_mul_hi_u32 s5, s21, s4
	s_mul_i32 s35, s21, s4
	s_mul_i32 s38, s36, s0
	s_mul_hi_u32 s4, s36, s4
	s_mul_hi_u32 s37, s36, s0
	s_add_u32 s4, s4, s38
	s_addc_u32 s37, 0, s37
	s_add_u32 s4, s4, s35
	s_mul_hi_u32 s1, s21, s0
	s_addc_u32 s4, s37, s5
	s_addc_u32 s1, s1, 0
	s_mul_i32 s0, s21, s0
	s_add_u32 s0, s4, s0
	s_addc_u32 s4, 0, s1
	s_add_u32 s5, s36, s0
	s_cselect_b64 s[0:1], -1, 0
	s_cmp_lg_u64 s[0:1], 0
	s_addc_u32 s4, s21, s4
	v_mad_u64_u32 v[13:14], s[0:1], v16, s4, 0
	v_mul_hi_u32 v3, v16, s5
	v_mad_u64_u32 v[18:19], s[0:1], v17, s4, 0
	v_add_co_u32_e32 v3, vcc, v3, v13
	v_addc_co_u32_e32 v20, vcc, 0, v14, vcc
	v_mad_u64_u32 v[13:14], s[0:1], v17, s5, 0
	v_add_co_u32_e32 v3, vcc, v3, v13
	v_addc_co_u32_e32 v3, vcc, v20, v14, vcc
	v_addc_co_u32_e32 v13, vcc, 0, v19, vcc
	v_add_co_u32_e32 v3, vcc, v3, v18
	v_addc_co_u32_e32 v18, vcc, 0, v13, vcc
	v_mul_lo_u32 v19, s58, v3
	v_mul_lo_u32 v20, s59, v18
	v_mad_u64_u32 v[13:14], s[0:1], s59, v3, 0
	v_add3_u32 v14, v14, v20, v19
	v_sub_u32_e32 v19, v17, v14
	v_mov_b32_e32 v20, s58
	v_sub_co_u32_e32 v13, vcc, v16, v13
	v_subb_co_u32_e64 v16, s[0:1], v19, v20, vcc
	v_subrev_co_u32_e64 v19, s[0:1], s59, v13
	v_subbrev_co_u32_e64 v16, s[0:1], 0, v16, s[0:1]
	v_cmp_le_u32_e64 s[0:1], s58, v16
	v_cndmask_b32_e64 v20, 0, -1, s[0:1]
	v_cmp_le_u32_e64 s[0:1], s59, v19
	v_cndmask_b32_e64 v19, 0, -1, s[0:1]
	v_cmp_eq_u32_e64 s[0:1], s58, v16
	v_cndmask_b32_e64 v16, v20, v19, s[0:1]
	v_add_co_u32_e64 v19, s[0:1], 2, v3
	v_subb_co_u32_e32 v14, vcc, v17, v14, vcc
	v_addc_co_u32_e64 v20, s[0:1], 0, v18, s[0:1]
	v_cmp_le_u32_e32 vcc, s58, v14
	v_add_co_u32_e64 v21, s[0:1], 1, v3
	v_cndmask_b32_e64 v17, 0, -1, vcc
	v_cmp_le_u32_e32 vcc, s59, v13
	v_addc_co_u32_e64 v22, s[0:1], 0, v18, s[0:1]
	v_cndmask_b32_e64 v13, 0, -1, vcc
	v_cmp_eq_u32_e32 vcc, s58, v14
	v_cmp_ne_u32_e64 s[0:1], 0, v16
	v_cndmask_b32_e32 v13, v17, v13, vcc
	v_cndmask_b32_e64 v16, v22, v20, s[0:1]
	v_cmp_ne_u32_e32 vcc, 0, v13
	v_cndmask_b32_e64 v13, v21, v19, s[0:1]
	v_cndmask_b32_e32 v14, v18, v16, vcc
	v_cndmask_b32_e32 v13, v3, v13, vcc
                                        ; implicit-def: $vgpr16
.LBB7_18:                               ;   in Loop: Header=BB7_4 Depth=1
	s_andn2_saveexec_b64 s[0:1], s[2:3]
	s_cbranch_execz .LBB7_20
; %bb.19:                               ;   in Loop: Header=BB7_4 Depth=1
	v_cvt_f32_u32_e32 v3, s59
	s_sub_i32 s2, 0, s59
	v_rcp_iflag_f32_e32 v3, v3
	v_mul_f32_e32 v3, 0x4f7ffffe, v3
	v_cvt_u32_f32_e32 v3, v3
	v_mul_lo_u32 v13, s2, v3
	v_mul_hi_u32 v13, v3, v13
	v_add_u32_e32 v3, v3, v13
	v_mul_hi_u32 v3, v16, v3
	v_mul_lo_u32 v13, v3, s59
	v_add_u32_e32 v14, 1, v3
	v_sub_u32_e32 v13, v16, v13
	v_subrev_u32_e32 v16, s59, v13
	v_cmp_le_u32_e32 vcc, s59, v13
	v_cndmask_b32_e32 v13, v13, v16, vcc
	v_cndmask_b32_e32 v3, v3, v14, vcc
	v_add_u32_e32 v14, 1, v3
	v_cmp_le_u32_e32 vcc, s59, v13
	v_cndmask_b32_e32 v13, v3, v14, vcc
	v_mov_b32_e32 v14, v2
.LBB7_20:                               ;   in Loop: Header=BB7_4 Depth=1
	s_or_b64 exec, exec, s[0:1]
	v_add_co_u32_e32 v3, vcc, v10, v12
	v_addc_co_u32_e32 v10, vcc, 0, v11, vcc
	v_mul_lo_u32 v16, v3, s11
	v_mad_u64_u32 v[11:12], s[0:1], v3, s10, v[8:9]
	v_add_co_u32_e32 v3, vcc, v13, v15
	v_addc_co_u32_e32 v9, vcc, 0, v14, vcc
	v_mul_lo_u32 v10, v10, s10
	v_mul_lo_u32 v15, v3, s13
	;; [unrolled: 1-line block ×3, first 2 shown]
	v_mad_u64_u32 v[13:14], s[0:1], v3, s12, v[6:7]
	v_add3_u32 v3, v10, v12, v16
	v_mul_lo_u32 v3, v3, s22
	v_add3_u32 v14, v9, v14, v15
	v_mad_u64_u32 v[9:10], s[0:1], v11, s22, v[13:14]
	v_mul_lo_u32 v7, v11, s23
	v_add_u32_e32 v8, s53, v8
	v_min_i32_e32 v8, s20, v8
	v_cmp_gt_i32_e32 vcc, v8, v11
	v_add3_u32 v10, v3, v10, v7
	v_mov_b32_e32 v12, 0xff800000
	s_and_saveexec_b64 s[36:37], vcc
	s_cbranch_execz .LBB7_3
; %bb.21:                               ;   in Loop: Header=BB7_4 Depth=1
	v_add_u32_e32 v3, s54, v6
	v_mov_b32_e32 v6, s18
	v_mov_b32_e32 v7, s19
	v_mad_u64_u32 v[6:7], s[0:1], s14, v4, v[6:7]
	v_mul_lo_u32 v12, s14, v5
	v_mul_lo_u32 v4, s15, v4
	v_min_i32_e32 v5, s22, v3
	v_ashrrev_i32_e32 v3, 31, v11
	v_cmp_gt_i32_e32 vcc, v5, v13
	v_add3_u32 v7, v4, v7, v12
	v_mov_b32_e32 v12, 0xff800000
	s_mov_b64 s[38:39], 0
	s_branch .LBB7_23
.LBB7_22:                               ;   in Loop: Header=BB7_23 Depth=2
	s_or_b64 exec, exec, s[40:41]
	v_add_u32_e32 v11, s6, v11
	v_cmp_ge_i32_e64 s[0:1], v11, v8
	s_or_b64 s[38:39], s[0:1], s[38:39]
	v_ashrrev_i32_e32 v3, 31, v11
	s_andn2_b64 exec, exec, s[38:39]
	s_cbranch_execz .LBB7_2
.LBB7_23:                               ;   Parent Loop BB7_4 Depth=1
                                        ; =>  This Loop Header: Depth=2
                                        ;       Child Loop BB7_25 Depth 3
	s_and_saveexec_b64 s[40:41], vcc
	s_cbranch_execz .LBB7_22
; %bb.24:                               ;   in Loop: Header=BB7_23 Depth=2
	v_ashrrev_i32_e32 v14, 31, v13
	v_mul_lo_u32 v15, v11, s23
	v_mul_lo_u32 v16, v3, s22
	v_mad_u64_u32 v[3:4], s[0:1], v11, s22, v[13:14]
	s_mov_b64 s[42:43], 0
	v_add3_u32 v4, v16, v4, v15
	v_lshlrev_b64 v[14:15], 2, v[3:4]
	v_mov_b32_e32 v16, v13
	v_add_co_u32_e64 v14, s[0:1], v6, v14
	v_addc_co_u32_e64 v15, s[0:1], v7, v15, s[0:1]
.LBB7_25:                               ;   Parent Loop BB7_4 Depth=1
                                        ;     Parent Loop BB7_23 Depth=2
                                        ; =>    This Inner Loop Header: Depth=3
	global_load_dword v17, v[14:15], off
	v_mov_b32_e32 v19, s29
	v_add_co_u32_e64 v14, s[0:1], s28, v14
	v_add_u32_e32 v16, s7, v16
	v_addc_co_u32_e64 v15, s[0:1], v15, v19, s[0:1]
	v_cmp_ge_i32_e64 s[0:1], v16, v5
	v_mov_b32_e32 v18, s13
	s_waitcnt vmcnt(0)
	v_cmp_gt_f32_e64 s[2:3], v17, v12
	v_cmp_u_f32_e64 s[4:5], v17, v17
	s_or_b64 s[2:3], s[2:3], s[4:5]
	v_cndmask_b32_e64 v9, v9, v3, s[2:3]
	s_or_b64 s[42:43], s[0:1], s[42:43]
	v_add_co_u32_e64 v3, s[0:1], s12, v3
	v_cndmask_b32_e64 v12, v12, v17, s[2:3]
	v_cndmask_b32_e64 v10, v10, v4, s[2:3]
	v_addc_co_u32_e64 v4, s[0:1], v4, v18, s[0:1]
	s_andn2_b64 exec, exec, s[42:43]
	s_cbranch_execnz .LBB7_25
; %bb.26:                               ;   in Loop: Header=BB7_23 Depth=2
	s_or_b64 exec, exec, s[42:43]
	s_branch .LBB7_22
.LBB7_27:
	s_endpgm
	.section	.rodata,"a",@progbits
	.p2align	6, 0x0
	.amdhsa_kernel _ZN2at6native12_GLOBAL__N_121max_pool_forward_nchwIflEEvT0_PKT_llliiiiiiiiiiPS4_Pl
		.amdhsa_group_segment_fixed_size 0
		.amdhsa_private_segment_fixed_size 0
		.amdhsa_kernarg_size 352
		.amdhsa_user_sgpr_count 6
		.amdhsa_user_sgpr_private_segment_buffer 1
		.amdhsa_user_sgpr_dispatch_ptr 0
		.amdhsa_user_sgpr_queue_ptr 0
		.amdhsa_user_sgpr_kernarg_segment_ptr 1
		.amdhsa_user_sgpr_dispatch_id 0
		.amdhsa_user_sgpr_flat_scratch_init 0
		.amdhsa_user_sgpr_private_segment_size 0
		.amdhsa_uses_dynamic_stack 0
		.amdhsa_system_sgpr_private_segment_wavefront_offset 0
		.amdhsa_system_sgpr_workgroup_id_x 1
		.amdhsa_system_sgpr_workgroup_id_y 0
		.amdhsa_system_sgpr_workgroup_id_z 0
		.amdhsa_system_sgpr_workgroup_info 0
		.amdhsa_system_vgpr_workitem_id 0
		.amdhsa_next_free_vgpr 23
		.amdhsa_next_free_sgpr 60
		.amdhsa_reserve_vcc 1
		.amdhsa_reserve_flat_scratch 0
		.amdhsa_float_round_mode_32 0
		.amdhsa_float_round_mode_16_64 0
		.amdhsa_float_denorm_mode_32 3
		.amdhsa_float_denorm_mode_16_64 3
		.amdhsa_dx10_clamp 1
		.amdhsa_ieee_mode 1
		.amdhsa_fp16_overflow 0
		.amdhsa_exception_fp_ieee_invalid_op 0
		.amdhsa_exception_fp_denorm_src 0
		.amdhsa_exception_fp_ieee_div_zero 0
		.amdhsa_exception_fp_ieee_overflow 0
		.amdhsa_exception_fp_ieee_underflow 0
		.amdhsa_exception_fp_ieee_inexact 0
		.amdhsa_exception_int_div_zero 0
	.end_amdhsa_kernel
	.section	.text._ZN2at6native12_GLOBAL__N_121max_pool_forward_nchwIflEEvT0_PKT_llliiiiiiiiiiPS4_Pl,"axG",@progbits,_ZN2at6native12_GLOBAL__N_121max_pool_forward_nchwIflEEvT0_PKT_llliiiiiiiiiiPS4_Pl,comdat
.Lfunc_end7:
	.size	_ZN2at6native12_GLOBAL__N_121max_pool_forward_nchwIflEEvT0_PKT_llliiiiiiiiiiPS4_Pl, .Lfunc_end7-_ZN2at6native12_GLOBAL__N_121max_pool_forward_nchwIflEEvT0_PKT_llliiiiiiiiiiPS4_Pl
                                        ; -- End function
	.set _ZN2at6native12_GLOBAL__N_121max_pool_forward_nchwIflEEvT0_PKT_llliiiiiiiiiiPS4_Pl.num_vgpr, 23
	.set _ZN2at6native12_GLOBAL__N_121max_pool_forward_nchwIflEEvT0_PKT_llliiiiiiiiiiPS4_Pl.num_agpr, 0
	.set _ZN2at6native12_GLOBAL__N_121max_pool_forward_nchwIflEEvT0_PKT_llliiiiiiiiiiPS4_Pl.numbered_sgpr, 60
	.set _ZN2at6native12_GLOBAL__N_121max_pool_forward_nchwIflEEvT0_PKT_llliiiiiiiiiiPS4_Pl.num_named_barrier, 0
	.set _ZN2at6native12_GLOBAL__N_121max_pool_forward_nchwIflEEvT0_PKT_llliiiiiiiiiiPS4_Pl.private_seg_size, 0
	.set _ZN2at6native12_GLOBAL__N_121max_pool_forward_nchwIflEEvT0_PKT_llliiiiiiiiiiPS4_Pl.uses_vcc, 1
	.set _ZN2at6native12_GLOBAL__N_121max_pool_forward_nchwIflEEvT0_PKT_llliiiiiiiiiiPS4_Pl.uses_flat_scratch, 0
	.set _ZN2at6native12_GLOBAL__N_121max_pool_forward_nchwIflEEvT0_PKT_llliiiiiiiiiiPS4_Pl.has_dyn_sized_stack, 0
	.set _ZN2at6native12_GLOBAL__N_121max_pool_forward_nchwIflEEvT0_PKT_llliiiiiiiiiiPS4_Pl.has_recursion, 0
	.set _ZN2at6native12_GLOBAL__N_121max_pool_forward_nchwIflEEvT0_PKT_llliiiiiiiiiiPS4_Pl.has_indirect_call, 0
	.section	.AMDGPU.csdata,"",@progbits
; Kernel info:
; codeLenInByte = 3916
; TotalNumSgprs: 64
; NumVgprs: 23
; ScratchSize: 0
; MemoryBound: 0
; FloatMode: 240
; IeeeMode: 1
; LDSByteSize: 0 bytes/workgroup (compile time only)
; SGPRBlocks: 7
; VGPRBlocks: 5
; NumSGPRsForWavesPerEU: 64
; NumVGPRsForWavesPerEU: 23
; Occupancy: 10
; WaveLimiterHint : 0
; COMPUTE_PGM_RSRC2:SCRATCH_EN: 0
; COMPUTE_PGM_RSRC2:USER_SGPR: 6
; COMPUTE_PGM_RSRC2:TRAP_HANDLER: 0
; COMPUTE_PGM_RSRC2:TGID_X_EN: 1
; COMPUTE_PGM_RSRC2:TGID_Y_EN: 0
; COMPUTE_PGM_RSRC2:TGID_Z_EN: 0
; COMPUTE_PGM_RSRC2:TIDIG_COMP_CNT: 0
	.section	.text._ZN2at6native12_GLOBAL__N_121max_pool_forward_nhwcIN3c104HalfEiEEvPKT_iT0_S8_S8_S8_S8_iiiiiiiiS8_S8_S8_S8_iiPS5_Pl,"axG",@progbits,_ZN2at6native12_GLOBAL__N_121max_pool_forward_nhwcIN3c104HalfEiEEvPKT_iT0_S8_S8_S8_S8_iiiiiiiiS8_S8_S8_S8_iiPS5_Pl,comdat
	.globl	_ZN2at6native12_GLOBAL__N_121max_pool_forward_nhwcIN3c104HalfEiEEvPKT_iT0_S8_S8_S8_S8_iiiiiiiiS8_S8_S8_S8_iiPS5_Pl ; -- Begin function _ZN2at6native12_GLOBAL__N_121max_pool_forward_nhwcIN3c104HalfEiEEvPKT_iT0_S8_S8_S8_S8_iiiiiiiiS8_S8_S8_S8_iiPS5_Pl
	.p2align	8
	.type	_ZN2at6native12_GLOBAL__N_121max_pool_forward_nhwcIN3c104HalfEiEEvPKT_iT0_S8_S8_S8_S8_iiiiiiiiS8_S8_S8_S8_iiPS5_Pl,@function
_ZN2at6native12_GLOBAL__N_121max_pool_forward_nhwcIN3c104HalfEiEEvPKT_iT0_S8_S8_S8_S8_iiiiiiiiS8_S8_S8_S8_iiPS5_Pl: ; @_ZN2at6native12_GLOBAL__N_121max_pool_forward_nhwcIN3c104HalfEiEEvPKT_iT0_S8_S8_S8_S8_iiiiiiiiS8_S8_S8_S8_iiPS5_Pl
; %bb.0:
	s_load_dwordx4 s[0:3], s[4:5], 0x6c
	s_load_dwordx4 s[28:31], s[4:5], 0x48
	s_waitcnt lgkmcnt(0)
	s_lshr_b32 s54, s2, 16
	s_and_b32 s36, s2, 0xffff
	v_mad_u32_u24 v6, v2, s54, v1
	s_and_b32 s33, s3, 0xffff
	v_mad_u64_u32 v[3:4], s[2:3], v6, s36, v[0:1]
	s_mul_i32 s9, s31, s36
	s_mul_i32 s34, s9, s54
	;; [unrolled: 1-line block ×3, first 2 shown]
	v_cmp_gt_u32_e32 vcc, s34, v3
	s_and_saveexec_b64 s[2:3], vcc
	s_cbranch_execz .LBB8_3
; %bb.1:
	s_mul_i32 s12, s54, s36
	s_lshl_b32 s10, s34, 2
	s_mul_i32 s12, s12, s33
	s_add_i32 s10, s10, 0
	v_lshl_add_u32 v4, v3, 1, s10
	s_lshl_b32 s13, s12, 1
	v_lshl_add_u32 v5, v3, 2, 0
	s_lshl_b32 s14, s12, 2
	s_mov_b64 s[10:11], 0
	v_mov_b32_e32 v7, 0xfffffc00
	v_mov_b32_e32 v8, 0
.LBB8_2:                                ; =>This Inner Loop Header: Depth=1
	v_add_u32_e32 v3, s12, v3
	v_cmp_le_u32_e32 vcc, s34, v3
	ds_write_b16 v4, v7
	ds_write_b32 v5, v8
	v_add_u32_e32 v4, s13, v4
	s_or_b64 s[10:11], vcc, s[10:11]
	v_add_u32_e32 v5, s14, v5
	s_andn2_b64 exec, exec, s[10:11]
	s_cbranch_execnz .LBB8_2
.LBB8_3:
	s_or_b64 exec, exec, s[2:3]
	v_cvt_f32_u32_e32 v3, s1
	s_load_dwordx16 s[12:27], s[4:5], 0x8
	s_sub_i32 s2, 0, s1
	s_waitcnt lgkmcnt(0)
	v_rcp_iflag_f32_e32 v3, v3
	s_barrier
	s_add_i32 s3, s16, s1
	s_add_i32 s3, s3, -1
	v_mul_f32_e32 v3, 0x4f7ffffe, v3
	v_cvt_u32_f32_e32 v3, v3
	v_cvt_f32_u32_e32 v4, s12
	v_readfirstlane_b32 s10, v3
	s_mul_i32 s2, s2, s10
	s_mul_hi_u32 s11, s10, s2
	s_add_i32 s10, s10, s11
	s_mul_hi_u32 s10, s3, s10
	v_cvt_f32_u32_e32 v3, s0
	s_mul_i32 s11, s10, s1
	s_sub_i32 s3, s3, s11
	s_add_i32 s11, s10, 1
	s_sub_i32 s35, s3, s1
	v_rcp_iflag_f32_e32 v4, v4
	v_rcp_iflag_f32_e32 v3, v3
	s_cmp_ge_u32 s3, s1
	s_cselect_b32 s10, s11, s10
	s_cselect_b32 s3, s35, s3
	s_add_i32 s11, s10, 1
	s_cmp_ge_u32 s3, s1
	v_mul_f32_e32 v4, 0x4f7ffffe, v4
	v_mul_f32_e32 v3, 0x4f7ffffe, v3
	s_cselect_b32 s3, s11, s10
	v_cvt_u32_f32_e32 v4, v4
	v_cvt_u32_f32_e32 v3, v3
	s_mul_i32 s8, s3, s8
	v_add_u32_e32 v14, s8, v2
	v_add_u32_e32 v2, s3, v14
	v_min_i32_e32 v15, s16, v2
	v_readfirstlane_b32 s2, v4
	v_readfirstlane_b32 s1, v3
	v_cmp_lt_i32_e32 vcc, v14, v15
	s_and_saveexec_b64 s[10:11], vcc
	s_cbranch_execz .LBB8_74
; %bb.4:
	s_sub_i32 s3, 0, s12
	s_mul_i32 s3, s3, s2
	s_mul_hi_u32 s3, s2, s3
	s_add_i32 s2, s2, s3
	s_add_i32 s3, s17, s0
	s_add_i32 s37, s3, -1
	s_sub_i32 s3, 0, s0
	s_mul_i32 s3, s3, s1
	s_mul_hi_u32 s3, s1, s3
	s_mul_hi_u32 s2, s6, s2
	s_add_i32 s1, s1, s3
	s_lshl_b32 s3, s34, 2
	s_add_i32 s40, s3, 0
	s_mul_i32 s3, s2, s12
	s_sub_i32 s3, s6, s3
	s_add_i32 s8, s2, 1
	s_sub_i32 s10, s3, s12
	s_cmp_ge_u32 s3, s12
	s_cselect_b32 s2, s8, s2
	s_cselect_b32 s3, s10, s3
	s_add_i32 s8, s2, 1
	s_cmp_ge_u32 s3, s12
	s_cselect_b32 s2, s8, s2
	s_load_dwordx2 s[38:39], s[4:5], 0x0
	s_mul_i32 s3, s2, s12
	s_mul_i32 s2, s2, s36
	s_sub_i32 s6, s6, s3
	v_add_u32_e32 v2, s2, v0
	s_mul_i32 s2, s16, s13
	s_mul_i32 s2, s2, s17
	;; [unrolled: 1-line block ×4, first 2 shown]
	s_ashr_i32 s11, s10, 31
	s_mul_hi_u32 s1, s37, s1
	s_ashr_i32 s3, s2, 31
	s_lshl_b64 s[34:35], s[10:11], 1
	v_mul_lo_u32 v3, s9, v6
	s_load_dwordx4 s[8:11], s[4:5], 0x58
	s_waitcnt lgkmcnt(0)
	s_add_u32 s12, s38, s34
	s_mul_i32 s4, s1, s0
	s_addc_u32 s55, s39, s35
	s_sub_i32 s4, s37, s4
	s_add_i32 s5, s1, 1
	s_sub_i32 s6, s4, s0
	s_cmp_ge_u32 s4, s0
	s_cselect_b32 s1, s5, s1
	s_cselect_b32 s4, s6, s4
	s_add_i32 s5, s1, 1
	s_cmp_ge_u32 s4, s0
	s_cselect_b32 s6, s5, s1
	s_mul_i32 s0, s6, s7
	v_add_u32_e32 v1, s0, v1
	s_add_i32 s0, s18, -1
	s_mul_i32 s56, s24, s0
	s_add_i32 s0, s19, -1
	s_mul_i32 s57, s25, s0
	s_add_i32 s56, s56, 1
	s_add_i32 s57, s57, 1
	s_max_i32 s0, s18, s19
	s_cmp_lt_i32 s0, 4
	s_mul_i32 s18, s30, s36
	s_cselect_b64 s[0:1], -1, 0
	s_cmp_le_u32 s13, s18
	s_cselect_b64 s[4:5], -1, 0
	s_max_u32 s58, s24, 1
	v_mul_lo_u32 v4, v2, s27
	v_cvt_f32_u32_e32 v10, s58
	v_lshlrev_b32_e32 v9, 1, v3
	s_and_b64 s[34:35], s[0:1], s[4:5]
	v_ashrrev_i32_e32 v5, 31, v4
	v_rcp_iflag_f32_e32 v10, v10
	v_lshlrev_b64 v[7:8], 1, v[4:5]
	v_mov_b32_e32 v5, s55
	v_add_co_u32_e32 v16, vcc, s12, v7
	v_addc_co_u32_e32 v17, vcc, v5, v8, vcc
	v_mul_f32_e32 v5, 0x4f7ffffe, v10
	v_cvt_u32_f32_e32 v5, v5
	v_lshlrev_b32_e32 v7, 1, v0
	v_add3_u32 v18, s40, v9, v7
	v_lshlrev_b32_e32 v9, 1, v6
	v_mul_lo_u32 v6, s31, v6
	s_sub_i32 s0, 0, s58
	v_mul_lo_u32 v8, s0, v5
	s_mul_i32 s0, s54, s33
	v_lshlrev_b32_e32 v3, 2, v3
	v_lshl_add_u32 v9, s0, 2, v9
	v_lshlrev_b32_e32 v10, 2, v0
	v_mul_lo_u32 v9, s31, v9
	v_add3_u32 v0, 0, v3, v10
	v_mul_lo_u32 v3, v6, s36
	v_mul_hi_u32 v8, v5, v8
	v_mul_lo_u32 v9, v9, s36
	s_lshl_b32 s59, s25, 1
	v_lshlrev_b32_e32 v3, 2, v3
	s_lshl_b32 s60, s36, 1
	v_add3_u32 v21, v3, v10, 0
	s_lshl_b32 s61, s36, 2
	s_lshl_b64 s[0:1], s[2:3], 1
	v_ashrrev_i32_e32 v3, 31, v2
	v_add_u32_e32 v19, v5, v8
	v_lshlrev_b64 v[5:6], 1, v[2:3]
	s_add_u32 s0, s8, s0
	s_addc_u32 s1, s9, s1
	s_ashr_i32 s19, s18, 31
	v_add3_u32 v20, v9, v7, 0
	v_mov_b32_e32 v7, s1
	v_add_co_u32_e32 v22, vcc, s0, v5
	s_lshl_b64 s[30:31], s[18:19], 1
	s_lshl_b64 s[0:1], s[2:3], 3
	s_add_u32 s2, s10, s0
	s_addc_u32 s0, s11, s1
	v_addc_co_u32_e32 v23, vcc, v7, v6, vcc
	v_mov_b32_e32 v9, s0
	v_mad_u64_u32 v[7:8], s[0:1], s17, v14, v[1:2]
	v_lshlrev_b64 v[5:6], 3, v[2:3]
	s_mul_i32 s63, s17, s13
	v_mul_lo_u32 v25, s13, v7
	v_add_co_u32_e32 v3, vcc, s2, v5
	v_add_u32_e32 v5, s6, v1
	v_min_i32_e32 v26, s17, v5
	v_addc_co_u32_e32 v24, vcc, v9, v6, vcc
	v_cmp_lt_i32_e64 s[0:1], v1, v26
	v_cmp_gt_i32_e64 s[2:3], s13, v2
	s_mul_i32 s62, s18, s27
	s_mul_i32 s63, s63, s33
	;; [unrolled: 1-line block ×3, first 2 shown]
	s_lshl_b64 s[16:17], s[18:19], 3
	s_mov_b64 s[26:27], 0
	v_mov_b32_e32 v27, 0
	v_mov_b32_e32 v28, 0xfffffc00
	s_branch .LBB8_6
.LBB8_5:                                ;   in Loop: Header=BB8_6 Depth=1
	s_or_b64 exec, exec, s[36:37]
	v_add_u32_e32 v14, s33, v14
	v_cmp_ge_i32_e32 vcc, v14, v15
	s_or_b64 s[26:27], vcc, s[26:27]
	v_add_u32_e32 v25, s63, v25
	s_andn2_b64 exec, exec, s[26:27]
	s_cbranch_execz .LBB8_74
.LBB8_6:                                ; =>This Loop Header: Depth=1
                                        ;     Child Loop BB8_9 Depth 2
                                        ;       Child Loop BB8_10 Depth 3
                                        ;       Child Loop BB8_63 Depth 3
                                        ;         Child Loop BB8_66 Depth 4
                                        ;           Child Loop BB8_69 Depth 5
                                        ;       Child Loop BB8_73 Depth 3
	s_and_saveexec_b64 s[36:37], s[0:1]
	s_cbranch_execz .LBB8_5
; %bb.7:                                ;   in Loop: Header=BB8_6 Depth=1
	v_mul_lo_u32 v6, v14, s20
	s_mov_b64 s[38:39], 0
	v_mov_b32_e32 v5, v25
	v_mov_b32_e32 v30, v1
	v_subrev_u32_e32 v7, s22, v6
	v_add_u32_e32 v6, s56, v7
	v_min_i32_e32 v29, s14, v6
	s_branch .LBB8_9
.LBB8_8:                                ;   in Loop: Header=BB8_9 Depth=2
	s_or_b64 exec, exec, s[4:5]
	v_add_u32_e32 v30, s54, v30
	v_cmp_ge_i32_e32 vcc, v30, v26
	s_or_b64 s[38:39], vcc, s[38:39]
	v_add_u32_e32 v5, s64, v5
	s_andn2_b64 exec, exec, s[38:39]
	s_cbranch_execz .LBB8_5
.LBB8_9:                                ;   Parent Loop BB8_6 Depth=1
                                        ; =>  This Loop Header: Depth=2
                                        ;       Child Loop BB8_10 Depth 3
                                        ;       Child Loop BB8_63 Depth 3
                                        ;         Child Loop BB8_66 Depth 4
                                        ;           Child Loop BB8_69 Depth 5
                                        ;       Child Loop BB8_73 Depth 3
	v_mul_lo_u32 v6, v30, s21
	s_mov_b64 s[4:5], 0
	s_waitcnt vmcnt(0)
	v_subrev_u32_e32 v8, s23, v6
	v_mov_b32_e32 v32, v8
.LBB8_10:                               ;   Parent Loop BB8_6 Depth=1
                                        ;     Parent Loop BB8_9 Depth=2
                                        ; =>    This Inner Loop Header: Depth=3
	v_mov_b32_e32 v6, v32
	v_cmp_lt_i32_e32 vcc, -1, v6
	s_or_b64 s[4:5], vcc, s[4:5]
	v_add_u32_e32 v32, s25, v6
	s_andn2_b64 exec, exec, s[4:5]
	s_cbranch_execnz .LBB8_10
; %bb.11:                               ;   in Loop: Header=BB8_9 Depth=2
	s_or_b64 exec, exec, s[4:5]
	v_lshrrev_b32_e32 v10, 31, v7
	v_max_i32_e32 v9, 0, v7
	v_add_u32_e32 v11, v7, v10
	v_sub_u32_e32 v9, v9, v11
	v_mul_hi_u32 v11, v9, v19
	v_add_u32_e32 v13, s57, v8
	v_min_i32_e32 v31, s15, v13
	v_mul_lo_u32 v12, v11, s58
	v_add_u32_e32 v8, 1, v11
	v_sub_u32_e32 v9, v9, v12
	v_cmp_le_u32_e32 vcc, s58, v9
	v_cndmask_b32_e32 v8, v11, v8, vcc
	v_subrev_u32_e32 v11, s58, v9
	v_cndmask_b32_e32 v9, v9, v11, vcc
	v_add_u32_e32 v11, 1, v8
	v_cmp_le_u32_e32 vcc, s58, v9
	v_cndmask_b32_e32 v8, v8, v11, vcc
	v_add_u32_e32 v8, v10, v8
	v_mad_u64_u32 v[7:8], s[4:5], s24, v8, v[7:8]
	s_mov_b64 s[4:5], -1
	s_and_b64 vcc, exec, s[34:35]
	v_cmp_lt_i32_e64 s[8:9], v7, v29
	s_cbranch_vccnz .LBB8_14
; %bb.12:                               ;   in Loop: Header=BB8_9 Depth=2
	s_and_b64 vcc, exec, s[4:5]
	s_cbranch_vccnz .LBB8_60
.LBB8_13:                               ;   in Loop: Header=BB8_9 Depth=2
	s_and_saveexec_b64 s[4:5], s[2:3]
	s_cbranch_execz .LBB8_8
	s_branch .LBB8_72
.LBB8_14:                               ;   in Loop: Header=BB8_9 Depth=2
	v_mul_lo_u32 v8, v7, s28
	v_cmp_lt_i32_e32 vcc, v6, v31
	v_mov_b32_e32 v34, 0
	v_mov_b32_e32 v36, 0
	v_ashrrev_i32_e32 v9, 31, v8
	v_lshlrev_b64 v[8:9], 1, v[8:9]
	v_add_co_u32_e64 v37, s[4:5], v16, v8
	v_mul_lo_u32 v8, v6, s29
	v_addc_co_u32_e64 v38, s[4:5], v17, v9, s[4:5]
	s_and_b64 s[4:5], s[8:9], vcc
	s_and_b64 s[40:41], s[2:3], s[4:5]
	v_ashrrev_i32_e32 v9, 31, v8
	s_and_saveexec_b64 s[6:7], s[40:41]
	s_cbranch_execz .LBB8_16
; %bb.15:                               ;   in Loop: Header=BB8_9 Depth=2
	v_lshlrev_b64 v[10:11], 1, v[8:9]
	v_add_co_u32_e64 v10, s[4:5], v37, v10
	v_addc_co_u32_e64 v11, s[4:5], v38, v11, s[4:5]
	global_load_ushort v36, v[10:11], off
.LBB8_16:                               ;   in Loop: Header=BB8_9 Depth=2
	s_or_b64 exec, exec, s[6:7]
	v_mul_lo_u32 v10, v32, s29
	v_cmp_lt_i32_e64 s[4:5], v32, v31
	s_and_b64 s[6:7], s[8:9], s[4:5]
	s_and_b64 s[42:43], s[2:3], s[6:7]
	v_ashrrev_i32_e32 v11, 31, v10
	s_and_saveexec_b64 s[10:11], s[42:43]
	s_cbranch_execz .LBB8_18
; %bb.17:                               ;   in Loop: Header=BB8_9 Depth=2
	v_lshlrev_b64 v[12:13], 1, v[10:11]
	v_add_co_u32_e64 v12, s[6:7], v37, v12
	v_addc_co_u32_e64 v13, s[6:7], v38, v13, s[6:7]
	global_load_ushort v34, v[12:13], off
.LBB8_18:                               ;   in Loop: Header=BB8_9 Depth=2
	s_or_b64 exec, exec, s[10:11]
	v_add_u32_e32 v33, s59, v6
	v_mul_lo_u32 v12, v33, s29
	v_cmp_lt_i32_e64 s[6:7], v33, v31
	s_and_b64 s[8:9], s[8:9], s[6:7]
	s_and_b64 s[44:45], s[2:3], s[8:9]
	v_mov_b32_e32 v35, 0
	v_ashrrev_i32_e32 v13, 31, v12
	v_mov_b32_e32 v39, 0
	s_and_saveexec_b64 s[10:11], s[44:45]
	s_cbranch_execz .LBB8_20
; %bb.19:                               ;   in Loop: Header=BB8_9 Depth=2
	v_lshlrev_b64 v[39:40], 1, v[12:13]
	v_add_co_u32_e64 v37, s[8:9], v37, v39
	v_addc_co_u32_e64 v38, s[8:9], v38, v40, s[8:9]
	global_load_ushort v39, v[37:38], off
.LBB8_20:                               ;   in Loop: Header=BB8_9 Depth=2
	s_or_b64 exec, exec, s[10:11]
	v_add_u32_e32 v40, s24, v7
	v_mul_lo_u32 v37, v40, s28
	v_cmp_lt_i32_e64 s[8:9], v40, v29
	v_ashrrev_i32_e32 v38, 31, v37
	v_lshlrev_b64 v[41:42], 1, v[37:38]
	v_add_co_u32_e64 v38, s[10:11], v16, v41
	v_addc_co_u32_e64 v42, s[10:11], v17, v42, s[10:11]
	s_and_b64 s[10:11], s[8:9], vcc
	s_and_b64 s[46:47], s[2:3], s[10:11]
	s_and_saveexec_b64 s[48:49], s[46:47]
	s_cbranch_execz .LBB8_22
; %bb.21:                               ;   in Loop: Header=BB8_9 Depth=2
	v_lshlrev_b64 v[43:44], 1, v[8:9]
	v_add_co_u32_e64 v43, s[10:11], v38, v43
	v_addc_co_u32_e64 v44, s[10:11], v42, v44, s[10:11]
	global_load_ushort v35, v[43:44], off
.LBB8_22:                               ;   in Loop: Header=BB8_9 Depth=2
	s_or_b64 exec, exec, s[48:49]
	s_and_b64 s[10:11], s[8:9], s[4:5]
	s_and_b64 s[48:49], s[2:3], s[10:11]
	v_mov_b32_e32 v37, 0
	v_mov_b32_e32 v41, 0
	s_and_saveexec_b64 s[50:51], s[48:49]
	s_cbranch_execz .LBB8_24
; %bb.23:                               ;   in Loop: Header=BB8_9 Depth=2
	v_lshlrev_b64 v[43:44], 1, v[10:11]
	v_add_co_u32_e64 v43, s[10:11], v38, v43
	v_addc_co_u32_e64 v44, s[10:11], v42, v44, s[10:11]
	global_load_ushort v41, v[43:44], off
.LBB8_24:                               ;   in Loop: Header=BB8_9 Depth=2
	s_or_b64 exec, exec, s[50:51]
	s_and_b64 s[8:9], s[8:9], s[6:7]
	s_and_b64 s[50:51], s[2:3], s[8:9]
	s_and_saveexec_b64 s[10:11], s[50:51]
	s_cbranch_execz .LBB8_26
; %bb.25:                               ;   in Loop: Header=BB8_9 Depth=2
	v_lshlrev_b64 v[43:44], 1, v[12:13]
	v_add_co_u32_e64 v37, s[8:9], v38, v43
	v_addc_co_u32_e64 v38, s[8:9], v42, v44, s[8:9]
	global_load_ushort v37, v[37:38], off
.LBB8_26:                               ;   in Loop: Header=BB8_9 Depth=2
	s_or_b64 exec, exec, s[10:11]
	v_add_u32_e32 v42, s24, v40
	v_mul_lo_u32 v43, v42, s28
	v_cmp_lt_i32_e64 s[8:9], v42, v29
	v_mov_b32_e32 v38, 0
	v_ashrrev_i32_e32 v44, 31, v43
	v_lshlrev_b64 v[44:45], 1, v[43:44]
	v_mov_b32_e32 v43, 0
	v_add_co_u32_e64 v44, s[10:11], v16, v44
	v_addc_co_u32_e64 v45, s[10:11], v17, v45, s[10:11]
	s_and_b64 s[10:11], s[8:9], vcc
	s_and_b64 s[10:11], s[2:3], s[10:11]
	s_and_saveexec_b64 s[52:53], s[10:11]
	s_cbranch_execz .LBB8_28
; %bb.27:                               ;   in Loop: Header=BB8_9 Depth=2
	v_lshlrev_b64 v[8:9], 1, v[8:9]
	v_add_co_u32_e32 v8, vcc, v44, v8
	v_addc_co_u32_e32 v9, vcc, v45, v9, vcc
	global_load_ushort v43, v[8:9], off
.LBB8_28:                               ;   in Loop: Header=BB8_9 Depth=2
	s_or_b64 exec, exec, s[52:53]
	s_and_b64 s[4:5], s[8:9], s[4:5]
	s_and_b64 s[52:53], s[2:3], s[4:5]
	s_and_saveexec_b64 s[4:5], s[52:53]
	s_cbranch_execz .LBB8_30
; %bb.29:                               ;   in Loop: Header=BB8_9 Depth=2
	v_lshlrev_b64 v[8:9], 1, v[10:11]
	v_add_co_u32_e32 v8, vcc, v44, v8
	v_addc_co_u32_e32 v9, vcc, v45, v9, vcc
	global_load_ushort v38, v[8:9], off
.LBB8_30:                               ;   in Loop: Header=BB8_9 Depth=2
	s_or_b64 exec, exec, s[4:5]
	s_and_b64 s[4:5], s[8:9], s[6:7]
	s_and_b64 s[6:7], s[2:3], s[4:5]
	v_mov_b32_e32 v8, 0
	s_and_saveexec_b64 s[4:5], s[6:7]
	s_cbranch_execz .LBB8_32
; %bb.31:                               ;   in Loop: Header=BB8_9 Depth=2
	v_lshlrev_b64 v[8:9], 1, v[12:13]
	v_add_co_u32_e32 v8, vcc, v44, v8
	v_addc_co_u32_e32 v9, vcc, v45, v9, vcc
	global_load_ushort v8, v[8:9], off
.LBB8_32:                               ;   in Loop: Header=BB8_9 Depth=2
	s_or_b64 exec, exec, s[4:5]
	v_mul_lo_u32 v9, v7, s15
	s_and_saveexec_b64 s[8:9], s[40:41]
	s_cbranch_execz .LBB8_35
; %bb.33:                               ;   in Loop: Header=BB8_9 Depth=2
	ds_read_u16 v10, v18
	s_waitcnt vmcnt(0)
	v_cmp_u_f16_e64 s[4:5], v36, v36
	s_waitcnt lgkmcnt(0)
	v_cmp_lt_f16_e32 vcc, v10, v36
	s_or_b64 s[4:5], vcc, s[4:5]
	s_and_b64 exec, exec, s[4:5]
	s_cbranch_execz .LBB8_35
; %bb.34:                               ;   in Loop: Header=BB8_9 Depth=2
	v_add_u32_e32 v10, v6, v9
	ds_write_b16 v18, v36
	ds_write_b32 v0, v10
.LBB8_35:                               ;   in Loop: Header=BB8_9 Depth=2
	s_or_b64 exec, exec, s[8:9]
	s_and_saveexec_b64 s[8:9], s[42:43]
	s_cbranch_execz .LBB8_38
; %bb.36:                               ;   in Loop: Header=BB8_9 Depth=2
	ds_read_u16 v10, v18
	s_waitcnt vmcnt(0)
	v_cmp_u_f16_e64 s[4:5], v34, v34
	s_waitcnt lgkmcnt(0)
	v_cmp_lt_f16_e32 vcc, v10, v34
	s_or_b64 s[4:5], vcc, s[4:5]
	s_and_b64 exec, exec, s[4:5]
	s_cbranch_execz .LBB8_38
; %bb.37:                               ;   in Loop: Header=BB8_9 Depth=2
	v_add_u32_e32 v10, v32, v9
	ds_write_b16 v18, v34
	ds_write_b32 v0, v10
.LBB8_38:                               ;   in Loop: Header=BB8_9 Depth=2
	s_or_b64 exec, exec, s[8:9]
	s_and_saveexec_b64 s[8:9], s[44:45]
	s_cbranch_execz .LBB8_41
; %bb.39:                               ;   in Loop: Header=BB8_9 Depth=2
	ds_read_u16 v10, v18
	s_waitcnt vmcnt(0)
	v_cmp_u_f16_e64 s[4:5], v39, v39
	s_waitcnt lgkmcnt(0)
	v_cmp_lt_f16_e32 vcc, v10, v39
	s_or_b64 s[4:5], vcc, s[4:5]
	s_and_b64 exec, exec, s[4:5]
	s_cbranch_execz .LBB8_41
; %bb.40:                               ;   in Loop: Header=BB8_9 Depth=2
	v_add_u32_e32 v9, v33, v9
	ds_write_b16 v18, v39
	ds_write_b32 v0, v9
.LBB8_41:                               ;   in Loop: Header=BB8_9 Depth=2
	s_or_b64 exec, exec, s[8:9]
	v_mul_lo_u32 v9, v40, s15
	s_and_saveexec_b64 s[8:9], s[46:47]
	s_cbranch_execz .LBB8_44
; %bb.42:                               ;   in Loop: Header=BB8_9 Depth=2
	ds_read_u16 v10, v18
	s_waitcnt vmcnt(0)
	v_cmp_u_f16_e64 s[4:5], v35, v35
	s_waitcnt lgkmcnt(0)
	v_cmp_lt_f16_e32 vcc, v10, v35
	s_or_b64 s[4:5], vcc, s[4:5]
	s_and_b64 exec, exec, s[4:5]
	s_cbranch_execz .LBB8_44
; %bb.43:                               ;   in Loop: Header=BB8_9 Depth=2
	v_add_u32_e32 v10, v6, v9
	ds_write_b16 v18, v35
	ds_write_b32 v0, v10
.LBB8_44:                               ;   in Loop: Header=BB8_9 Depth=2
	s_or_b64 exec, exec, s[8:9]
	s_and_saveexec_b64 s[8:9], s[48:49]
	s_cbranch_execz .LBB8_47
; %bb.45:                               ;   in Loop: Header=BB8_9 Depth=2
	ds_read_u16 v10, v18
	s_waitcnt vmcnt(0)
	v_cmp_u_f16_e64 s[4:5], v41, v41
	s_waitcnt lgkmcnt(0)
	v_cmp_lt_f16_e32 vcc, v10, v41
	s_or_b64 s[4:5], vcc, s[4:5]
	s_and_b64 exec, exec, s[4:5]
	s_cbranch_execz .LBB8_47
; %bb.46:                               ;   in Loop: Header=BB8_9 Depth=2
	v_add_u32_e32 v10, v32, v9
	ds_write_b16 v18, v41
	ds_write_b32 v0, v10
.LBB8_47:                               ;   in Loop: Header=BB8_9 Depth=2
	s_or_b64 exec, exec, s[8:9]
	s_and_saveexec_b64 s[8:9], s[50:51]
	s_cbranch_execz .LBB8_50
; %bb.48:                               ;   in Loop: Header=BB8_9 Depth=2
	ds_read_u16 v10, v18
	s_waitcnt vmcnt(0)
	v_cmp_u_f16_e64 s[4:5], v37, v37
	s_waitcnt lgkmcnt(0)
	v_cmp_lt_f16_e32 vcc, v10, v37
	s_or_b64 s[4:5], vcc, s[4:5]
	s_and_b64 exec, exec, s[4:5]
	s_cbranch_execz .LBB8_50
; %bb.49:                               ;   in Loop: Header=BB8_9 Depth=2
	v_add_u32_e32 v9, v33, v9
	ds_write_b16 v18, v37
	ds_write_b32 v0, v9
.LBB8_50:                               ;   in Loop: Header=BB8_9 Depth=2
	;; [unrolled: 52-line block ×3, first 2 shown]
	s_or_b64 exec, exec, s[8:9]
	s_branch .LBB8_13
.LBB8_60:                               ;   in Loop: Header=BB8_9 Depth=2
	v_cmp_lt_i32_e32 vcc, v7, v29
	s_and_saveexec_b64 s[8:9], vcc
	s_cbranch_execz .LBB8_71
; %bb.61:                               ;   in Loop: Header=BB8_9 Depth=2
	v_cmp_lt_i32_e32 vcc, v6, v31
	s_mov_b64 s[10:11], 0
	v_mov_b32_e32 v10, v7
	s_branch .LBB8_63
.LBB8_62:                               ;   in Loop: Header=BB8_63 Depth=3
	s_or_b64 exec, exec, s[40:41]
	v_add_u32_e32 v10, s24, v10
	v_cmp_ge_i32_e64 s[4:5], v10, v29
	s_or_b64 s[10:11], s[4:5], s[10:11]
	s_andn2_b64 exec, exec, s[10:11]
	s_cbranch_execz .LBB8_71
.LBB8_63:                               ;   Parent Loop BB8_6 Depth=1
                                        ;     Parent Loop BB8_9 Depth=2
                                        ; =>    This Loop Header: Depth=3
                                        ;         Child Loop BB8_66 Depth 4
                                        ;           Child Loop BB8_69 Depth 5
	s_and_saveexec_b64 s[40:41], vcc
	s_cbranch_execz .LBB8_62
; %bb.64:                               ;   in Loop: Header=BB8_63 Depth=3
	s_waitcnt vmcnt(0)
	v_mul_lo_u32 v8, v10, s28
	v_mul_lo_u32 v11, v10, s15
	v_mov_b32_e32 v13, s55
	s_mov_b64 s[42:43], 0
	v_ashrrev_i32_e32 v9, 31, v8
	v_lshlrev_b64 v[8:9], 1, v[8:9]
	v_mov_b32_e32 v32, v6
	v_add_co_u32_e64 v12, s[4:5], s12, v8
	v_addc_co_u32_e64 v13, s[4:5], v13, v9, s[4:5]
	s_branch .LBB8_66
.LBB8_65:                               ;   in Loop: Header=BB8_66 Depth=4
	s_or_b64 exec, exec, s[44:45]
	v_add_u32_e32 v32, s25, v32
	v_cmp_ge_i32_e64 s[4:5], v32, v31
	s_or_b64 s[42:43], s[4:5], s[42:43]
	s_andn2_b64 exec, exec, s[42:43]
	s_cbranch_execz .LBB8_62
.LBB8_66:                               ;   Parent Loop BB8_6 Depth=1
                                        ;     Parent Loop BB8_9 Depth=2
                                        ;       Parent Loop BB8_63 Depth=3
                                        ; =>      This Loop Header: Depth=4
                                        ;           Child Loop BB8_69 Depth 5
	s_and_saveexec_b64 s[44:45], s[2:3]
	s_cbranch_execz .LBB8_65
; %bb.67:                               ;   in Loop: Header=BB8_66 Depth=4
	v_mul_lo_u32 v8, v32, s29
	v_add_u32_e32 v33, v32, v11
	s_mov_b64 s[46:47], 0
	v_mov_b32_e32 v36, v21
	v_ashrrev_i32_e32 v9, 31, v8
	v_lshlrev_b64 v[8:9], 1, v[8:9]
	v_mov_b32_e32 v37, v20
	v_add_co_u32_e64 v34, s[4:5], v12, v8
	v_addc_co_u32_e64 v35, s[4:5], v13, v9, s[4:5]
	v_mov_b32_e32 v8, v4
	v_mov_b32_e32 v38, v2
	s_branch .LBB8_69
.LBB8_68:                               ;   in Loop: Header=BB8_69 Depth=5
	s_or_b64 exec, exec, s[4:5]
	v_add_u32_e32 v38, s18, v38
	v_cmp_le_i32_e64 s[4:5], s13, v38
	v_add_u32_e32 v8, s62, v8
	v_add_u32_e32 v37, s60, v37
	s_or_b64 s[46:47], s[4:5], s[46:47]
	v_add_u32_e32 v36, s61, v36
	s_andn2_b64 exec, exec, s[46:47]
	s_cbranch_execz .LBB8_65
.LBB8_69:                               ;   Parent Loop BB8_6 Depth=1
                                        ;     Parent Loop BB8_9 Depth=2
                                        ;       Parent Loop BB8_63 Depth=3
                                        ;         Parent Loop BB8_66 Depth=4
                                        ; =>        This Inner Loop Header: Depth=5
	v_ashrrev_i32_e32 v9, 31, v8
	v_lshlrev_b64 v[39:40], 1, v[8:9]
	v_add_co_u32_e64 v39, s[4:5], v34, v39
	v_addc_co_u32_e64 v40, s[4:5], v35, v40, s[4:5]
	global_load_ushort v9, v[39:40], off
	ds_read_u16 v39, v37
	s_waitcnt vmcnt(0) lgkmcnt(0)
	v_cmp_lt_f16_e64 s[4:5], v39, v9
	v_cmp_u_f16_e64 s[6:7], v9, v9
	s_or_b64 s[6:7], s[4:5], s[6:7]
	s_and_saveexec_b64 s[4:5], s[6:7]
	s_cbranch_execz .LBB8_68
; %bb.70:                               ;   in Loop: Header=BB8_69 Depth=5
	ds_write_b16 v37, v9
	ds_write_b32 v36, v33
	s_branch .LBB8_68
.LBB8_71:                               ;   in Loop: Header=BB8_9 Depth=2
	s_or_b64 exec, exec, s[8:9]
	s_and_saveexec_b64 s[4:5], s[2:3]
	s_cbranch_execz .LBB8_8
.LBB8_72:                               ;   in Loop: Header=BB8_9 Depth=2
	v_ashrrev_i32_e32 v6, 31, v5
	s_waitcnt vmcnt(0)
	v_lshlrev_b64 v[8:9], 1, v[5:6]
	v_lshlrev_b64 v[10:11], 3, v[5:6]
	v_add_co_u32_e32 v8, vcc, v22, v8
	v_addc_co_u32_e32 v9, vcc, v23, v9, vcc
	v_add_co_u32_e32 v10, vcc, v3, v10
	v_addc_co_u32_e32 v11, vcc, v24, v11, vcc
	s_mov_b64 s[6:7], 0
	v_mov_b32_e32 v6, v21
	v_mov_b32_e32 v12, v20
	;; [unrolled: 1-line block ×3, first 2 shown]
.LBB8_73:                               ;   Parent Loop BB8_6 Depth=1
                                        ;     Parent Loop BB8_9 Depth=2
                                        ; =>    This Inner Loop Header: Depth=3
	ds_read_u16 v32, v12
	ds_read_b32 v31, v6
	v_add_u32_e32 v13, s18, v13
	v_cmp_le_i32_e32 vcc, s13, v13
	ds_write_b16 v12, v28
	ds_write_b32 v6, v27
	v_mov_b32_e32 v33, s31
	s_or_b64 s[6:7], vcc, s[6:7]
	s_waitcnt lgkmcnt(3)
	global_store_short v[8:9], v32, off
	v_add_co_u32_e32 v8, vcc, s30, v8
	s_waitcnt lgkmcnt(2)
	v_ashrrev_i32_e32 v32, 31, v31
	v_addc_co_u32_e32 v9, vcc, v9, v33, vcc
	v_mov_b32_e32 v34, s17
	global_store_dwordx2 v[10:11], v[31:32], off
	v_add_co_u32_e32 v10, vcc, s16, v10
	v_add_u32_e32 v12, s60, v12
	v_add_u32_e32 v6, s61, v6
	v_addc_co_u32_e32 v11, vcc, v11, v34, vcc
	s_andn2_b64 exec, exec, s[6:7]
	s_cbranch_execnz .LBB8_73
	s_branch .LBB8_8
.LBB8_74:
	s_endpgm
	.section	.rodata,"a",@progbits
	.p2align	6, 0x0
	.amdhsa_kernel _ZN2at6native12_GLOBAL__N_121max_pool_forward_nhwcIN3c104HalfEiEEvPKT_iT0_S8_S8_S8_S8_iiiiiiiiS8_S8_S8_S8_iiPS5_Pl
		.amdhsa_group_segment_fixed_size 0
		.amdhsa_private_segment_fixed_size 0
		.amdhsa_kernarg_size 360
		.amdhsa_user_sgpr_count 6
		.amdhsa_user_sgpr_private_segment_buffer 1
		.amdhsa_user_sgpr_dispatch_ptr 0
		.amdhsa_user_sgpr_queue_ptr 0
		.amdhsa_user_sgpr_kernarg_segment_ptr 1
		.amdhsa_user_sgpr_dispatch_id 0
		.amdhsa_user_sgpr_flat_scratch_init 0
		.amdhsa_user_sgpr_private_segment_size 0
		.amdhsa_uses_dynamic_stack 0
		.amdhsa_system_sgpr_private_segment_wavefront_offset 0
		.amdhsa_system_sgpr_workgroup_id_x 1
		.amdhsa_system_sgpr_workgroup_id_y 1
		.amdhsa_system_sgpr_workgroup_id_z 1
		.amdhsa_system_sgpr_workgroup_info 0
		.amdhsa_system_vgpr_workitem_id 2
		.amdhsa_next_free_vgpr 46
		.amdhsa_next_free_sgpr 65
		.amdhsa_reserve_vcc 1
		.amdhsa_reserve_flat_scratch 0
		.amdhsa_float_round_mode_32 0
		.amdhsa_float_round_mode_16_64 0
		.amdhsa_float_denorm_mode_32 3
		.amdhsa_float_denorm_mode_16_64 3
		.amdhsa_dx10_clamp 1
		.amdhsa_ieee_mode 1
		.amdhsa_fp16_overflow 0
		.amdhsa_exception_fp_ieee_invalid_op 0
		.amdhsa_exception_fp_denorm_src 0
		.amdhsa_exception_fp_ieee_div_zero 0
		.amdhsa_exception_fp_ieee_overflow 0
		.amdhsa_exception_fp_ieee_underflow 0
		.amdhsa_exception_fp_ieee_inexact 0
		.amdhsa_exception_int_div_zero 0
	.end_amdhsa_kernel
	.section	.text._ZN2at6native12_GLOBAL__N_121max_pool_forward_nhwcIN3c104HalfEiEEvPKT_iT0_S8_S8_S8_S8_iiiiiiiiS8_S8_S8_S8_iiPS5_Pl,"axG",@progbits,_ZN2at6native12_GLOBAL__N_121max_pool_forward_nhwcIN3c104HalfEiEEvPKT_iT0_S8_S8_S8_S8_iiiiiiiiS8_S8_S8_S8_iiPS5_Pl,comdat
.Lfunc_end8:
	.size	_ZN2at6native12_GLOBAL__N_121max_pool_forward_nhwcIN3c104HalfEiEEvPKT_iT0_S8_S8_S8_S8_iiiiiiiiS8_S8_S8_S8_iiPS5_Pl, .Lfunc_end8-_ZN2at6native12_GLOBAL__N_121max_pool_forward_nhwcIN3c104HalfEiEEvPKT_iT0_S8_S8_S8_S8_iiiiiiiiS8_S8_S8_S8_iiPS5_Pl
                                        ; -- End function
	.set _ZN2at6native12_GLOBAL__N_121max_pool_forward_nhwcIN3c104HalfEiEEvPKT_iT0_S8_S8_S8_S8_iiiiiiiiS8_S8_S8_S8_iiPS5_Pl.num_vgpr, 46
	.set _ZN2at6native12_GLOBAL__N_121max_pool_forward_nhwcIN3c104HalfEiEEvPKT_iT0_S8_S8_S8_S8_iiiiiiiiS8_S8_S8_S8_iiPS5_Pl.num_agpr, 0
	.set _ZN2at6native12_GLOBAL__N_121max_pool_forward_nhwcIN3c104HalfEiEEvPKT_iT0_S8_S8_S8_S8_iiiiiiiiS8_S8_S8_S8_iiPS5_Pl.numbered_sgpr, 65
	.set _ZN2at6native12_GLOBAL__N_121max_pool_forward_nhwcIN3c104HalfEiEEvPKT_iT0_S8_S8_S8_S8_iiiiiiiiS8_S8_S8_S8_iiPS5_Pl.num_named_barrier, 0
	.set _ZN2at6native12_GLOBAL__N_121max_pool_forward_nhwcIN3c104HalfEiEEvPKT_iT0_S8_S8_S8_S8_iiiiiiiiS8_S8_S8_S8_iiPS5_Pl.private_seg_size, 0
	.set _ZN2at6native12_GLOBAL__N_121max_pool_forward_nhwcIN3c104HalfEiEEvPKT_iT0_S8_S8_S8_S8_iiiiiiiiS8_S8_S8_S8_iiPS5_Pl.uses_vcc, 1
	.set _ZN2at6native12_GLOBAL__N_121max_pool_forward_nhwcIN3c104HalfEiEEvPKT_iT0_S8_S8_S8_S8_iiiiiiiiS8_S8_S8_S8_iiPS5_Pl.uses_flat_scratch, 0
	.set _ZN2at6native12_GLOBAL__N_121max_pool_forward_nhwcIN3c104HalfEiEEvPKT_iT0_S8_S8_S8_S8_iiiiiiiiS8_S8_S8_S8_iiPS5_Pl.has_dyn_sized_stack, 0
	.set _ZN2at6native12_GLOBAL__N_121max_pool_forward_nhwcIN3c104HalfEiEEvPKT_iT0_S8_S8_S8_S8_iiiiiiiiS8_S8_S8_S8_iiPS5_Pl.has_recursion, 0
	.set _ZN2at6native12_GLOBAL__N_121max_pool_forward_nhwcIN3c104HalfEiEEvPKT_iT0_S8_S8_S8_S8_iiiiiiiiS8_S8_S8_S8_iiPS5_Pl.has_indirect_call, 0
	.section	.AMDGPU.csdata,"",@progbits
; Kernel info:
; codeLenInByte = 3172
; TotalNumSgprs: 69
; NumVgprs: 46
; ScratchSize: 0
; MemoryBound: 0
; FloatMode: 240
; IeeeMode: 1
; LDSByteSize: 0 bytes/workgroup (compile time only)
; SGPRBlocks: 8
; VGPRBlocks: 11
; NumSGPRsForWavesPerEU: 69
; NumVGPRsForWavesPerEU: 46
; Occupancy: 5
; WaveLimiterHint : 1
; COMPUTE_PGM_RSRC2:SCRATCH_EN: 0
; COMPUTE_PGM_RSRC2:USER_SGPR: 6
; COMPUTE_PGM_RSRC2:TRAP_HANDLER: 0
; COMPUTE_PGM_RSRC2:TGID_X_EN: 1
; COMPUTE_PGM_RSRC2:TGID_Y_EN: 1
; COMPUTE_PGM_RSRC2:TGID_Z_EN: 1
; COMPUTE_PGM_RSRC2:TIDIG_COMP_CNT: 2
	.section	.text._ZN2at6native12_GLOBAL__N_121max_pool_forward_nhwcIN3c104HalfElEEvPKT_iT0_S8_S8_S8_S8_iiiiiiiiS8_S8_S8_S8_iiPS5_Pl,"axG",@progbits,_ZN2at6native12_GLOBAL__N_121max_pool_forward_nhwcIN3c104HalfElEEvPKT_iT0_S8_S8_S8_S8_iiiiiiiiS8_S8_S8_S8_iiPS5_Pl,comdat
	.globl	_ZN2at6native12_GLOBAL__N_121max_pool_forward_nhwcIN3c104HalfElEEvPKT_iT0_S8_S8_S8_S8_iiiiiiiiS8_S8_S8_S8_iiPS5_Pl ; -- Begin function _ZN2at6native12_GLOBAL__N_121max_pool_forward_nhwcIN3c104HalfElEEvPKT_iT0_S8_S8_S8_S8_iiiiiiiiS8_S8_S8_S8_iiPS5_Pl
	.p2align	8
	.type	_ZN2at6native12_GLOBAL__N_121max_pool_forward_nhwcIN3c104HalfElEEvPKT_iT0_S8_S8_S8_S8_iiiiiiiiS8_S8_S8_S8_iiPS5_Pl,@function
_ZN2at6native12_GLOBAL__N_121max_pool_forward_nhwcIN3c104HalfElEEvPKT_iT0_S8_S8_S8_S8_iiiiiiiiS8_S8_S8_S8_iiPS5_Pl: ; @_ZN2at6native12_GLOBAL__N_121max_pool_forward_nhwcIN3c104HalfElEEvPKT_iT0_S8_S8_S8_S8_iiiiiiiiS8_S8_S8_S8_iiPS5_Pl
; %bb.0:
	s_load_dwordx4 s[0:3], s[4:5], 0x94
	s_load_dwordx2 s[10:11], s[4:5], 0x78
	s_waitcnt lgkmcnt(0)
	s_lshr_b32 s60, s2, 16
	s_and_b32 s9, s2, 0xffff
	v_mad_u32_u24 v6, v2, s60, v1
	s_and_b32 s33, s3, 0xffff
	v_mad_u64_u32 v[3:4], s[2:3], v6, s9, v[0:1]
	s_mul_i32 s14, s11, s9
	s_mul_i32 s15, s14, s60
	;; [unrolled: 1-line block ×3, first 2 shown]
	v_cmp_gt_u32_e32 vcc, s15, v3
	s_and_saveexec_b64 s[2:3], vcc
	s_cbranch_execz .LBB9_3
; %bb.1:
	s_mul_i32 s16, s60, s9
	s_lshl_b32 s12, s15, 3
	s_mul_i32 s16, s16, s33
	s_add_i32 s12, s12, 0
	v_mov_b32_e32 v4, 0
	v_lshl_add_u32 v7, v3, 1, s12
	s_lshl_b32 s17, s16, 1
	v_lshl_add_u32 v8, v3, 3, 0
	s_lshl_b32 s18, s16, 3
	s_mov_b64 s[12:13], 0
	v_mov_b32_e32 v9, 0xfffffc00
	v_mov_b32_e32 v5, v4
.LBB9_2:                                ; =>This Inner Loop Header: Depth=1
	v_add_u32_e32 v3, s16, v3
	v_cmp_le_u32_e32 vcc, s15, v3
	ds_write_b16 v7, v9
	ds_write_b64 v8, v[4:5]
	v_add_u32_e32 v7, s17, v7
	s_or_b64 s[12:13], vcc, s[12:13]
	v_add_u32_e32 v8, s18, v8
	s_andn2_b64 exec, exec, s[12:13]
	s_cbranch_execnz .LBB9_2
.LBB9_3:
	s_or_b64 exec, exec, s[2:3]
	v_cvt_f32_u32_e32 v3, s1
	s_load_dword s2, s[4:5], 0x8
	s_load_dwordx8 s[20:27], s[4:5], 0x10
	s_sub_i32 s3, 0, s1
	s_waitcnt lgkmcnt(0)
	v_rcp_iflag_f32_e32 v3, v3
	v_cvt_f32_u32_e32 v4, s2
	s_add_i32 s12, s26, s1
	s_add_i32 s12, s12, -1
	v_mul_f32_e32 v3, 0x4f7ffffe, v3
	v_cvt_u32_f32_e32 v3, v3
	v_rcp_iflag_f32_e32 v4, v4
	s_barrier
	v_readfirstlane_b32 s13, v3
	s_mul_i32 s16, s3, s13
	s_mul_hi_u32 s16, s13, s16
	s_add_i32 s13, s13, s16
	s_mul_hi_u32 s13, s12, s13
	v_cvt_f32_u32_e32 v3, s0
	s_mul_i32 s16, s13, s1
	s_sub_i32 s12, s12, s16
	s_add_i32 s16, s13, 1
	s_sub_i32 s17, s12, s1
	v_rcp_iflag_f32_e32 v3, v3
	s_cmp_ge_u32 s12, s1
	s_cselect_b32 s13, s16, s13
	s_cselect_b32 s12, s17, s12
	s_add_i32 s16, s13, 1
	s_cmp_ge_u32 s12, s1
	v_mul_f32_e32 v4, 0x4f7ffffe, v4
	v_mul_f32_e32 v3, 0x4f7ffffe, v3
	s_cselect_b32 s12, s16, s13
	v_cvt_u32_f32_e32 v4, v4
	v_cvt_u32_f32_e32 v3, v3
	s_mul_i32 s8, s12, s8
	v_add_u32_e32 v33, s8, v2
	v_add_u32_e32 v2, s12, v33
	v_min_i32_e32 v34, s26, v2
	v_readfirstlane_b32 s3, v4
	v_readfirstlane_b32 s1, v3
	v_cmp_lt_i32_e32 vcc, v33, v34
	s_and_saveexec_b64 s[12:13], vcc
	s_cbranch_execz .LBB9_78
; %bb.4:
	s_load_dwordx2 s[18:19], s[4:5], 0x30
	s_load_dwordx2 s[12:13], s[4:5], 0x0
	s_sub_i32 s8, 0, s2
	s_mul_i32 s8, s8, s3
	s_mul_hi_u32 s8, s3, s8
	s_add_i32 s3, s3, s8
	s_waitcnt lgkmcnt(0)
	s_add_i32 s8, s18, s0
	s_add_i32 s28, s8, -1
	s_sub_i32 s8, 0, s0
	s_mul_i32 s8, s8, s1
	s_mul_hi_u32 s3, s6, s3
	s_mul_hi_u32 s8, s1, s8
	s_add_i32 s1, s1, s8
	s_lshl_b32 s8, s15, 3
	s_mul_i32 s15, s3, s2
	s_sub_i32 s15, s6, s15
	s_add_i32 s8, s8, 0
	s_add_i32 s16, s3, 1
	s_sub_i32 s17, s15, s2
	s_cmp_ge_u32 s15, s2
	s_cselect_b32 s3, s16, s3
	s_cselect_b32 s15, s17, s15
	s_add_i32 s16, s3, 1
	s_load_dwordx8 s[36:43], s[4:5], 0x58
	s_cmp_ge_u32 s15, s2
	s_cselect_b32 s15, s16, s3
	s_mul_i32 s2, s15, s2
	s_sub_i32 s2, s6, s2
	s_ashr_i32 s3, s2, 31
	s_waitcnt lgkmcnt(0)
	s_mul_i32 s6, s36, s3
	s_mul_hi_u32 s16, s36, s2
	s_add_i32 s6, s16, s6
	s_mul_i32 s16, s37, s2
	s_add_i32 s17, s6, s16
	s_mul_i32 s16, s36, s2
	s_mul_hi_u32 s1, s28, s1
	s_lshl_b64 s[16:17], s[16:17], 1
	s_add_u32 s61, s12, s16
	s_mul_i32 s6, s1, s0
	s_addc_u32 s62, s13, s17
	s_sub_i32 s6, s28, s6
	s_add_i32 s12, s1, 1
	s_sub_i32 s13, s6, s0
	s_cmp_ge_u32 s6, s0
	s_cselect_b32 s1, s12, s1
	s_cselect_b32 s6, s13, s6
	s_add_i32 s12, s1, 1
	v_mul_lo_u32 v2, s14, v6
	s_cmp_ge_u32 s6, s0
	s_cselect_b32 s12, s12, s1
	s_mul_i32 s0, s12, s7
	s_mul_i32 s15, s15, s9
	v_add_u32_e32 v35, s0, v1
	v_add_u32_e32 v1, s15, v0
	s_load_dwordx8 s[44:51], s[4:5], 0x38
	v_lshlrev_b32_e32 v13, 1, v2
	v_lshlrev_b32_e32 v14, 3, v2
	s_load_dwordx4 s[4:7], s[4:5], 0x80
	v_ashrrev_i32_e32 v2, 31, v1
	s_mul_i32 s28, s10, s9
	v_mul_lo_u32 v9, s38, v2
	v_mul_lo_u32 v10, s39, v1
	v_mad_u64_u32 v[3:4], s[0:1], s38, v1, 0
	v_mov_b32_e32 v5, 0
	v_mov_b32_e32 v7, s28
	;; [unrolled: 1-line block ×3, first 2 shown]
	v_cmp_le_i64_e32 vcc, s[20:21], v[7:8]
	v_lshlrev_b64 v[7:8], 3, v[1:2]
	v_add3_u32 v4, v4, v9, v10
	s_waitcnt lgkmcnt(0)
	v_mov_b32_e32 v9, s7
	v_add_co_u32_e64 v7, s[0:1], s6, v7
	v_addc_co_u32_e64 v8, s[0:1], v9, v8, s[0:1]
	v_lshlrev_b64 v[9:10], 1, v[1:2]
	v_mov_b32_e32 v11, s5
	v_add_co_u32_e64 v9, s[0:1], s4, v9
	v_addc_co_u32_e64 v10, s[0:1], v11, v10, s[0:1]
	v_lshlrev_b64 v[11:12], 1, v[3:4]
	v_mov_b32_e32 v15, s62
	v_add_co_u32_e64 v36, s[0:1], s61, v11
	v_addc_co_u32_e64 v37, s[0:1], v15, v12, s[0:1]
	s_add_i32 s0, s44, -1
	s_add_i32 s4, s45, -1
	s_mul_i32 s0, s50, s0
	s_mul_i32 s4, s51, s4
	s_add_i32 s65, s0, 1
	s_add_i32 s69, s4, 1
	s_ashr_i32 s63, s48, 31
	s_ashr_i32 s66, s65, 31
	;; [unrolled: 1-line block ×6, first 2 shown]
	s_max_i32 s4, s44, s45
	s_cmp_lt_i32 s4, 4
	s_mov_b32 s30, s50
	s_cselect_b64 s[4:5], -1, 0
	s_and_b64 s[34:35], s[4:5], vcc
	v_cmp_gt_u64_e64 s[4:5], s[30:31], 1
	s_ashr_i32 s6, s10, 31
	s_and_b64 s[4:5], s[4:5], exec
	s_cselect_b32 s72, s31, 0
	s_cselect_b32 s73, s50, 1
	s_add_u32 s4, s49, s51
	s_addc_u32 s5, s67, s71
	s_sub_u32 s74, 0, s4
	v_add_u32_e32 v11, s12, v35
	s_subb_u32 s75, 0, s5
	s_mul_hi_u32 s4, s38, s10
	s_mul_i32 s5, s38, s6
	v_min_i32_e32 v38, s18, v11
	v_lshlrev_b32_e32 v11, 1, v0
	s_add_i32 s4, s4, s5
	s_mul_i32 s5, s39, s10
	v_add3_u32 v39, s8, v13, v11
	s_add_i32 s4, s4, s5
	s_mul_i32 s5, s60, s33
	v_lshlrev_b32_e32 v13, 1, v6
	v_lshl_add_u32 v13, s5, 3, v13
	s_mul_i32 s5, s38, s10
	v_mul_lo_u32 v6, s11, v6
	v_mul_lo_u32 v13, s11, v13
	s_mul_i32 s4, s4, s9
	s_mul_hi_u32 s6, s5, s9
	s_add_i32 s76, s6, s4
	s_mul_i32 s77, s5, s9
	s_mul_i32 s4, s18, s27
	s_mul_hi_u32 s5, s18, s26
	s_add_i32 s4, s5, s4
	s_mul_i32 s5, s19, s26
	v_mul_lo_u32 v6, v6, s9
	s_add_i32 s4, s4, s5
	s_mul_i32 s5, s18, s26
	v_mul_lo_u32 v13, v13, s9
	s_mul_i32 s3, s5, s3
	s_mul_hi_u32 s6, s5, s2
	s_add_i32 s3, s6, s3
	s_mul_i32 s4, s4, s2
	s_add_i32 s3, s3, s4
	s_mul_i32 s2, s5, s2
	s_mul_hi_i32 s29, s9, s10
	v_lshlrev_b32_e32 v12, 3, v0
	v_lshlrev_b32_e32 v6, 3, v6
	s_lshl_b64 s[26:27], s[2:3], 3
	s_lshl_b64 s[36:37], s[2:3], 1
	v_cmp_le_i64_e64 s[2:3], s[20:21], v[1:2]
	v_cmp_gt_i64_e64 s[4:5], s[20:21], v[1:2]
	s_mov_b32 s64, s48
	v_cmp_lt_i32_e64 s[0:1], v35, v38
	s_mov_b32 s68, s49
	v_add3_u32 v0, 0, v14, v12
	v_add3_u32 v40, v13, v11, 0
	s_lshl_b32 s78, s9, 1
	v_add3_u32 v41, v6, v12, 0
	s_lshl_b32 s79, s9, 3
	v_mov_b32_e32 v42, 0xfffffc00
	s_mov_b32 s80, s51
	s_mov_b64 s[38:39], 0
	s_lshl_b64 s[44:45], s[28:29], 3
	s_lshl_b64 s[48:49], s[28:29], 1
	s_branch .LBB9_6
.LBB9_5:                                ;   in Loop: Header=BB9_6 Depth=1
	s_or_b64 exec, exec, s[52:53]
	v_add_u32_e32 v33, s33, v33
	v_cmp_ge_i32_e32 vcc, v33, v34
	s_or_b64 s[38:39], vcc, s[38:39]
	s_andn2_b64 exec, exec, s[38:39]
	s_cbranch_execz .LBB9_78
.LBB9_6:                                ; =>This Loop Header: Depth=1
                                        ;     Child Loop BB9_9 Depth 2
                                        ;       Child Loop BB9_14 Depth 3
                                        ;       Child Loop BB9_67 Depth 3
                                        ;         Child Loop BB9_70 Depth 4
                                        ;           Child Loop BB9_73 Depth 5
                                        ;       Child Loop BB9_77 Depth 3
	s_and_saveexec_b64 s[52:53], s[0:1]
	s_cbranch_execz .LBB9_5
; %bb.7:                                ;   in Loop: Header=BB9_6 Depth=1
	v_ashrrev_i32_e32 v6, 31, v33
	v_mul_lo_u32 v15, s19, v33
	v_mul_lo_u32 v6, s18, v6
	v_mad_u64_u32 v[11:12], s[6:7], s18, v33, 0
	v_mad_i64_i32 v[13:14], s[6:7], v33, s46, 0
	v_add3_u32 v12, v12, v6, v15
	v_mov_b32_e32 v6, s63
	v_subrev_co_u32_e32 v13, vcc, s64, v13
	v_subb_co_u32_e32 v14, vcc, v14, v6, vcc
	v_mov_b32_e32 v6, s66
	v_add_co_u32_e32 v15, vcc, s65, v13
	v_addc_co_u32_e32 v16, vcc, v14, v6, vcc
	v_cmp_gt_i64_e32 vcc, s[22:23], v[15:16]
	v_mov_b32_e32 v6, s23
	v_cndmask_b32_e32 v16, v6, v16, vcc
	v_mov_b32_e32 v6, s22
	v_cndmask_b32_e32 v15, v6, v15, vcc
	s_mov_b64 s[54:55], 0
	v_mov_b32_e32 v43, v35
	s_branch .LBB9_9
.LBB9_8:                                ;   in Loop: Header=BB9_9 Depth=2
	s_or_b64 exec, exec, s[6:7]
	v_add_u32_e32 v43, s60, v43
	v_cmp_ge_i32_e32 vcc, v43, v38
	s_or_b64 s[54:55], vcc, s[54:55]
	s_andn2_b64 exec, exec, s[54:55]
	s_cbranch_execz .LBB9_5
.LBB9_9:                                ;   Parent Loop BB9_6 Depth=1
                                        ; =>  This Loop Header: Depth=2
                                        ;       Child Loop BB9_14 Depth 3
                                        ;       Child Loop BB9_67 Depth 3
                                        ;         Child Loop BB9_70 Depth 4
                                        ;           Child Loop BB9_73 Depth 5
                                        ;       Child Loop BB9_77 Depth 3
	v_cmp_lt_i64_e32 vcc, 0, v[13:14]
	v_lshrrev_b32_e32 v23, 31, v14
	v_cndmask_b32_e32 v6, 0, v14, vcc
	v_cndmask_b32_e32 v17, 0, v13, vcc
	v_add_co_u32_e32 v18, vcc, v13, v23
	v_addc_co_u32_e32 v19, vcc, 0, v14, vcc
	v_sub_co_u32_e32 v17, vcc, v17, v18
	v_subb_co_u32_e32 v18, vcc, v6, v19, vcc
	v_or_b32_e32 v6, s72, v18
	v_cmp_ne_u64_e32 vcc, 0, v[5:6]
                                        ; implicit-def: $vgpr19_vgpr20
	s_and_saveexec_b64 s[6:7], vcc
	s_xor_b64 s[8:9], exec, s[6:7]
	s_cbranch_execz .LBB9_11
; %bb.10:                               ;   in Loop: Header=BB9_9 Depth=2
	v_cvt_f32_u32_e32 v6, s73
	v_cvt_f32_u32_e32 v19, s72
	s_sub_u32 s10, 0, s73
	s_subb_u32 s11, 0, s72
	v_mac_f32_e32 v6, 0x4f800000, v19
	v_rcp_f32_e32 v6, v6
	v_mul_f32_e32 v6, 0x5f7ffffc, v6
	v_mul_f32_e32 v19, 0x2f800000, v6
	v_trunc_f32_e32 v19, v19
	v_mac_f32_e32 v6, 0xcf800000, v19
	v_cvt_u32_f32_e32 v19, v19
	v_cvt_u32_f32_e32 v6, v6
	v_readfirstlane_b32 s12, v19
	v_readfirstlane_b32 s6, v6
	s_mul_i32 s7, s10, s12
	s_mul_hi_u32 s14, s10, s6
	s_mul_i32 s13, s11, s6
	s_add_i32 s7, s14, s7
	s_mul_i32 s15, s10, s6
	s_add_i32 s7, s7, s13
	s_mul_i32 s14, s6, s7
	s_mul_hi_u32 s16, s6, s15
	s_mul_hi_u32 s13, s6, s7
	s_add_u32 s14, s16, s14
	s_addc_u32 s13, 0, s13
	s_mul_hi_u32 s17, s12, s15
	s_mul_i32 s15, s12, s15
	s_add_u32 s14, s14, s15
	s_mul_hi_u32 s16, s12, s7
	s_addc_u32 s13, s13, s17
	s_addc_u32 s14, s16, 0
	s_mul_i32 s7, s12, s7
	s_add_u32 s7, s13, s7
	s_addc_u32 s13, 0, s14
	s_add_u32 s14, s6, s7
	s_cselect_b64 s[6:7], -1, 0
	s_cmp_lg_u64 s[6:7], 0
	s_addc_u32 s12, s12, s13
	s_mul_i32 s6, s10, s12
	s_mul_hi_u32 s7, s10, s14
	s_add_i32 s6, s7, s6
	s_mul_i32 s11, s11, s14
	s_add_i32 s6, s6, s11
	s_mul_i32 s10, s10, s14
	s_mul_hi_u32 s11, s12, s10
	s_mul_i32 s13, s12, s10
	s_mul_i32 s16, s14, s6
	s_mul_hi_u32 s10, s14, s10
	s_mul_hi_u32 s15, s14, s6
	s_add_u32 s10, s10, s16
	s_addc_u32 s15, 0, s15
	s_add_u32 s10, s10, s13
	s_mul_hi_u32 s7, s12, s6
	s_addc_u32 s10, s15, s11
	s_addc_u32 s7, s7, 0
	s_mul_i32 s6, s12, s6
	s_add_u32 s6, s10, s6
	s_addc_u32 s10, 0, s7
	s_add_u32 s11, s14, s6
	s_cselect_b64 s[6:7], -1, 0
	s_cmp_lg_u64 s[6:7], 0
	s_addc_u32 s10, s12, s10
	v_mad_u64_u32 v[19:20], s[6:7], v17, s10, 0
	v_mul_hi_u32 v6, v17, s11
	v_mad_u64_u32 v[21:22], s[6:7], v18, s10, 0
	v_add_co_u32_e32 v6, vcc, v6, v19
	v_addc_co_u32_e32 v24, vcc, 0, v20, vcc
	v_mad_u64_u32 v[19:20], s[6:7], v18, s11, 0
	v_add_co_u32_e32 v6, vcc, v6, v19
	v_addc_co_u32_e32 v6, vcc, v24, v20, vcc
	v_addc_co_u32_e32 v19, vcc, 0, v22, vcc
	v_add_co_u32_e32 v6, vcc, v6, v21
	v_addc_co_u32_e32 v21, vcc, 0, v19, vcc
	v_mul_lo_u32 v22, s72, v6
	v_mul_lo_u32 v24, s73, v21
	v_mad_u64_u32 v[19:20], s[6:7], s73, v6, 0
	v_add3_u32 v20, v20, v24, v22
	v_sub_u32_e32 v22, v18, v20
	v_mov_b32_e32 v24, s72
	v_sub_co_u32_e32 v17, vcc, v17, v19
	v_subb_co_u32_e64 v19, s[6:7], v22, v24, vcc
	v_subrev_co_u32_e64 v22, s[6:7], s73, v17
	v_subbrev_co_u32_e64 v19, s[6:7], 0, v19, s[6:7]
	v_cmp_le_u32_e64 s[6:7], s72, v19
	v_cndmask_b32_e64 v24, 0, -1, s[6:7]
	v_cmp_le_u32_e64 s[6:7], s73, v22
	v_cndmask_b32_e64 v22, 0, -1, s[6:7]
	v_cmp_eq_u32_e64 s[6:7], s72, v19
	v_cndmask_b32_e64 v19, v24, v22, s[6:7]
	v_add_co_u32_e64 v22, s[6:7], 2, v6
	v_subb_co_u32_e32 v18, vcc, v18, v20, vcc
	v_addc_co_u32_e64 v24, s[6:7], 0, v21, s[6:7]
	v_cmp_le_u32_e32 vcc, s72, v18
	v_add_co_u32_e64 v25, s[6:7], 1, v6
	v_cndmask_b32_e64 v20, 0, -1, vcc
	v_cmp_le_u32_e32 vcc, s73, v17
	v_addc_co_u32_e64 v26, s[6:7], 0, v21, s[6:7]
	v_cndmask_b32_e64 v17, 0, -1, vcc
	v_cmp_eq_u32_e32 vcc, s72, v18
	v_cmp_ne_u32_e64 s[6:7], 0, v19
	v_cndmask_b32_e32 v17, v20, v17, vcc
	v_cndmask_b32_e64 v19, v26, v24, s[6:7]
	v_cmp_ne_u32_e32 vcc, 0, v17
	v_cndmask_b32_e64 v17, v25, v22, s[6:7]
	v_cndmask_b32_e32 v20, v21, v19, vcc
	v_cndmask_b32_e32 v19, v6, v17, vcc
                                        ; implicit-def: $vgpr17
.LBB9_11:                               ;   in Loop: Header=BB9_9 Depth=2
	s_andn2_saveexec_b64 s[6:7], s[8:9]
	s_cbranch_execz .LBB9_13
; %bb.12:                               ;   in Loop: Header=BB9_9 Depth=2
	v_cvt_f32_u32_e32 v6, s73
	s_sub_i32 s8, 0, s73
	v_mov_b32_e32 v20, v5
	v_rcp_iflag_f32_e32 v6, v6
	v_mul_f32_e32 v6, 0x4f7ffffe, v6
	v_cvt_u32_f32_e32 v6, v6
	v_mul_lo_u32 v18, s8, v6
	v_mul_hi_u32 v18, v6, v18
	v_add_u32_e32 v6, v6, v18
	v_mul_hi_u32 v6, v17, v6
	v_mul_lo_u32 v18, v6, s73
	v_add_u32_e32 v19, 1, v6
	v_sub_u32_e32 v17, v17, v18
	v_subrev_u32_e32 v18, s73, v17
	v_cmp_le_u32_e32 vcc, s73, v17
	v_cndmask_b32_e32 v17, v17, v18, vcc
	v_cndmask_b32_e32 v6, v6, v19, vcc
	v_add_u32_e32 v18, 1, v6
	v_cmp_le_u32_e32 vcc, s73, v17
	v_cndmask_b32_e32 v19, v6, v18, vcc
.LBB9_13:                               ;   in Loop: Header=BB9_9 Depth=2
	s_or_b64 exec, exec, s[6:7]
	v_mad_i64_i32 v[21:22], s[6:7], s47, v43, 0
	v_mov_b32_e32 v18, s75
	v_ashrrev_i32_e32 v6, 31, v43
	v_add_co_u32_e32 v17, vcc, s74, v21
	v_addc_co_u32_e32 v18, vcc, v18, v22, vcc
	s_mov_b64 s[6:7], 0
.LBB9_14:                               ;   Parent Loop BB9_6 Depth=1
                                        ;     Parent Loop BB9_9 Depth=2
                                        ; =>    This Inner Loop Header: Depth=3
	v_mov_b32_e32 v24, s71
	v_add_co_u32_e32 v17, vcc, s80, v17
	v_addc_co_u32_e32 v18, vcc, v18, v24, vcc
	v_cmp_lt_i64_e32 vcc, -1, v[17:18]
	s_or_b64 s[6:7], vcc, s[6:7]
	s_andn2_b64 exec, exec, s[6:7]
	s_cbranch_execnz .LBB9_14
; %bb.15:                               ;   in Loop: Header=BB9_9 Depth=2
	s_or_b64 exec, exec, s[6:7]
	v_mov_b32_e32 v24, s67
	v_subrev_co_u32_e32 v21, vcc, s68, v21
	v_subb_co_u32_e32 v22, vcc, v22, v24, vcc
	v_mov_b32_e32 v24, s70
	v_add_co_u32_e32 v21, vcc, s69, v21
	v_addc_co_u32_e32 v22, vcc, v22, v24, vcc
	v_add_co_u32_e32 v19, vcc, v23, v19
	v_addc_co_u32_e32 v20, vcc, 0, v20, vcc
	v_mul_lo_u32 v24, v19, s31
	v_mul_lo_u32 v25, v20, s30
	v_mad_u64_u32 v[13:14], s[6:7], v19, s30, v[13:14]
	v_cmp_gt_i64_e32 vcc, s[24:25], v[21:22]
	v_mov_b32_e32 v23, s25
	v_mov_b32_e32 v19, s24
	v_cndmask_b32_e32 v20, v23, v22, vcc
	v_cndmask_b32_e32 v19, v19, v21, vcc
	v_add3_u32 v14, v25, v14, v24
	s_mov_b64 s[6:7], -1
	s_and_b64 vcc, exec, s[34:35]
	s_cbranch_vccnz .LBB9_18
; %bb.16:                               ;   in Loop: Header=BB9_9 Depth=2
	s_and_b64 vcc, exec, s[6:7]
	s_cbranch_vccnz .LBB9_64
.LBB9_17:                               ;   in Loop: Header=BB9_9 Depth=2
	s_and_saveexec_b64 s[6:7], s[4:5]
	s_cbranch_execz .LBB9_8
	s_branch .LBB9_76
.LBB9_18:                               ;   in Loop: Header=BB9_9 Depth=2
	v_ashrrev_i32_e32 v28, 31, v13
	v_mul_lo_u32 v23, s41, v13
	v_mul_lo_u32 v24, s40, v28
	v_mad_u64_u32 v[21:22], s[6:7], s40, v13, 0
	v_mov_b32_e32 v27, v13
	v_cmp_le_i64_e32 vcc, v[15:16], v[27:28]
	v_add3_u32 v22, v22, v24, v23
	v_lshlrev_b64 v[23:24], 1, v[21:22]
	v_ashrrev_i32_e32 v22, 31, v17
	v_mov_b32_e32 v21, v17
	v_cmp_le_i64_e64 s[10:11], v[19:20], v[21:22]
	v_add_co_u32_e64 v29, s[6:7], v36, v23
	v_mul_lo_u32 v51, s43, v21
	v_mul_lo_u32 v53, s42, v22
	v_addc_co_u32_e64 v30, s[6:7], v37, v24, s[6:7]
	s_or_b64 s[6:7], vcc, s[10:11]
	s_nor_b64 s[6:7], s[6:7], s[2:3]
	v_mov_b32_e32 v44, 0
	v_mov_b32_e32 v47, 0
	s_and_saveexec_b64 s[8:9], s[6:7]
	s_cbranch_execz .LBB9_20
; %bb.19:                               ;   in Loop: Header=BB9_9 Depth=2
	v_mad_u64_u32 v[23:24], s[6:7], s42, v21, 0
	v_add3_u32 v24, v24, v53, v51
	v_lshlrev_b64 v[23:24], 1, v[23:24]
	v_add_co_u32_e64 v23, s[6:7], v29, v23
	v_addc_co_u32_e64 v24, s[6:7], v30, v24, s[6:7]
	global_load_ushort v47, v[23:24], off
.LBB9_20:                               ;   in Loop: Header=BB9_9 Depth=2
	s_or_b64 exec, exec, s[8:9]
	v_add_u32_e32 v23, s51, v17
	v_ashrrev_i32_e32 v24, 31, v23
	v_cmp_le_i64_e64 s[12:13], v[19:20], v[23:24]
	v_mul_lo_u32 v54, s43, v23
	v_mul_lo_u32 v55, s42, v24
	s_or_b64 s[6:7], vcc, s[12:13]
	s_nor_b64 s[6:7], s[6:7], s[2:3]
	s_and_saveexec_b64 s[8:9], s[6:7]
	s_cbranch_execz .LBB9_22
; %bb.21:                               ;   in Loop: Header=BB9_9 Depth=2
	v_mad_u64_u32 v[25:26], s[6:7], s42, v23, 0
	v_add3_u32 v26, v26, v55, v54
	v_lshlrev_b64 v[25:26], 1, v[25:26]
	v_add_co_u32_e64 v25, s[6:7], v29, v25
	v_addc_co_u32_e64 v26, s[6:7], v30, v26, s[6:7]
	global_load_ushort v44, v[25:26], off
.LBB9_22:                               ;   in Loop: Header=BB9_9 Depth=2
	s_or_b64 exec, exec, s[8:9]
	v_add_u32_e32 v25, s51, v23
	v_ashrrev_i32_e32 v26, 31, v25
	v_cmp_le_i64_e64 s[14:15], v[19:20], v[25:26]
	v_mul_lo_u32 v56, s43, v25
	v_mul_lo_u32 v57, s42, v26
	s_or_b64 s[6:7], vcc, s[14:15]
	s_nor_b64 s[6:7], s[6:7], s[2:3]
	v_mov_b32_e32 v45, 0
	v_mov_b32_e32 v49, 0
	s_and_saveexec_b64 s[8:9], s[6:7]
	s_cbranch_execz .LBB9_24
; %bb.23:                               ;   in Loop: Header=BB9_9 Depth=2
	v_mad_u64_u32 v[31:32], s[6:7], s42, v25, 0
	v_add3_u32 v32, v32, v57, v56
	v_lshlrev_b64 v[31:32], 1, v[31:32]
	v_add_co_u32_e64 v29, s[6:7], v29, v31
	v_addc_co_u32_e64 v30, s[6:7], v30, v32, s[6:7]
	global_load_ushort v49, v[29:30], off
.LBB9_24:                               ;   in Loop: Header=BB9_9 Depth=2
	s_or_b64 exec, exec, s[8:9]
	v_add_u32_e32 v29, s50, v13
	v_ashrrev_i32_e32 v30, 31, v29
	v_mul_lo_u32 v46, s41, v29
	v_mad_u64_u32 v[31:32], s[6:7], s40, v29, 0
	v_mul_lo_u32 v48, s40, v30
	v_cmp_le_i64_e64 s[6:7], v[15:16], v[29:30]
	v_add3_u32 v32, v32, v48, v46
	v_lshlrev_b64 v[31:32], 1, v[31:32]
	v_add_co_u32_e64 v31, s[8:9], v36, v31
	v_addc_co_u32_e64 v32, s[8:9], v37, v32, s[8:9]
	s_or_b64 s[8:9], s[6:7], s[10:11]
	s_nor_b64 s[8:9], s[8:9], s[2:3]
	s_and_saveexec_b64 s[16:17], s[8:9]
	s_cbranch_execz .LBB9_26
; %bb.25:                               ;   in Loop: Header=BB9_9 Depth=2
	v_mad_u64_u32 v[45:46], s[8:9], s42, v21, 0
	v_add3_u32 v46, v46, v53, v51
	v_lshlrev_b64 v[45:46], 1, v[45:46]
	v_add_co_u32_e64 v45, s[8:9], v31, v45
	v_addc_co_u32_e64 v46, s[8:9], v32, v46, s[8:9]
	global_load_ushort v45, v[45:46], off
.LBB9_26:                               ;   in Loop: Header=BB9_9 Depth=2
	s_or_b64 exec, exec, s[16:17]
	s_or_b64 s[8:9], s[6:7], s[12:13]
	s_nor_b64 s[8:9], s[8:9], s[2:3]
	v_mov_b32_e32 v46, 0
	v_mov_b32_e32 v50, 0
	s_and_saveexec_b64 s[16:17], s[8:9]
	s_cbranch_execz .LBB9_28
; %bb.27:                               ;   in Loop: Header=BB9_9 Depth=2
	v_mad_u64_u32 v[58:59], s[8:9], s42, v23, 0
	v_add3_u32 v59, v59, v55, v54
	v_lshlrev_b64 v[58:59], 1, v[58:59]
	v_add_co_u32_e64 v58, s[8:9], v31, v58
	v_addc_co_u32_e64 v59, s[8:9], v32, v59, s[8:9]
	global_load_ushort v50, v[58:59], off
.LBB9_28:                               ;   in Loop: Header=BB9_9 Depth=2
	s_or_b64 exec, exec, s[16:17]
	s_or_b64 s[8:9], s[6:7], s[14:15]
	s_nor_b64 s[8:9], s[8:9], s[2:3]
	s_and_saveexec_b64 s[16:17], s[8:9]
	s_cbranch_execz .LBB9_30
; %bb.29:                               ;   in Loop: Header=BB9_9 Depth=2
	v_mad_u64_u32 v[58:59], s[8:9], s42, v25, 0
	v_add3_u32 v59, v59, v57, v56
	v_lshlrev_b64 v[58:59], 1, v[58:59]
	v_add_co_u32_e64 v31, s[8:9], v31, v58
	v_addc_co_u32_e64 v32, s[8:9], v32, v59, s[8:9]
	global_load_ushort v46, v[31:32], off
.LBB9_30:                               ;   in Loop: Header=BB9_9 Depth=2
	s_or_b64 exec, exec, s[16:17]
	v_add_u32_e32 v31, s50, v29
	v_ashrrev_i32_e32 v32, 31, v31
	v_mul_lo_u32 v48, s41, v31
	v_mad_u64_u32 v[58:59], s[8:9], s40, v31, 0
	v_mul_lo_u32 v52, s40, v32
	v_cmp_le_i64_e64 s[8:9], v[15:16], v[31:32]
	v_add3_u32 v59, v59, v52, v48
	v_lshlrev_b64 v[58:59], 1, v[58:59]
	v_mov_b32_e32 v48, 0
	v_add_co_u32_e64 v58, s[16:17], v36, v58
	v_addc_co_u32_e64 v59, s[16:17], v37, v59, s[16:17]
	s_or_b64 s[16:17], s[8:9], s[10:11]
	s_nor_b64 s[16:17], s[16:17], s[2:3]
	v_mov_b32_e32 v52, 0
	s_and_saveexec_b64 s[56:57], s[16:17]
	s_cbranch_execz .LBB9_32
; %bb.31:                               ;   in Loop: Header=BB9_9 Depth=2
	v_mad_u64_u32 v[60:61], s[16:17], s42, v21, 0
	v_add3_u32 v61, v61, v53, v51
	v_lshlrev_b64 v[51:52], 1, v[60:61]
	v_add_co_u32_e64 v51, s[16:17], v58, v51
	v_addc_co_u32_e64 v52, s[16:17], v59, v52, s[16:17]
	global_load_ushort v52, v[51:52], off
.LBB9_32:                               ;   in Loop: Header=BB9_9 Depth=2
	s_or_b64 exec, exec, s[56:57]
	s_or_b64 s[16:17], s[8:9], s[12:13]
	s_nor_b64 s[16:17], s[16:17], s[2:3]
	s_and_saveexec_b64 s[56:57], s[16:17]
	s_cbranch_execz .LBB9_34
; %bb.33:                               ;   in Loop: Header=BB9_9 Depth=2
	v_mad_u64_u32 v[60:61], s[16:17], s42, v23, 0
	v_add3_u32 v61, v61, v55, v54
	v_lshlrev_b64 v[53:54], 1, v[60:61]
	v_add_co_u32_e64 v53, s[16:17], v58, v53
	v_addc_co_u32_e64 v54, s[16:17], v59, v54, s[16:17]
	global_load_ushort v48, v[53:54], off
.LBB9_34:                               ;   in Loop: Header=BB9_9 Depth=2
	s_or_b64 exec, exec, s[56:57]
	s_or_b64 s[16:17], s[8:9], s[14:15]
	s_nor_b64 s[16:17], s[16:17], s[2:3]
	v_mov_b32_e32 v51, 0
	s_and_saveexec_b64 s[56:57], s[16:17]
	s_cbranch_execz .LBB9_36
; %bb.35:                               ;   in Loop: Header=BB9_9 Depth=2
	v_mad_u64_u32 v[53:54], s[16:17], s42, v25, 0
	v_add3_u32 v54, v54, v57, v56
	v_lshlrev_b64 v[53:54], 1, v[53:54]
	v_add_co_u32_e64 v53, s[16:17], v58, v53
	v_addc_co_u32_e64 v54, s[16:17], v59, v54, s[16:17]
	global_load_ushort v51, v[53:54], off
.LBB9_36:                               ;   in Loop: Header=BB9_9 Depth=2
	s_or_b64 exec, exec, s[56:57]
	v_mul_lo_u32 v53, s25, v27
	v_mul_lo_u32 v54, s24, v28
	v_mad_u64_u32 v[27:28], s[16:17], s24, v27, 0
	s_or_b64 s[56:57], s[2:3], s[10:11]
	s_nor_b64 s[10:11], vcc, s[56:57]
	v_add3_u32 v28, v28, v54, v53
	s_and_saveexec_b64 s[58:59], s[10:11]
	s_cbranch_execz .LBB9_39
; %bb.37:                               ;   in Loop: Header=BB9_9 Depth=2
	ds_read_u16 v53, v39
	s_waitcnt vmcnt(0)
	v_cmp_u_f16_e64 s[16:17], v47, v47
	s_waitcnt lgkmcnt(0)
	v_cmp_lt_f16_e64 s[10:11], v53, v47
	s_or_b64 s[10:11], s[10:11], s[16:17]
	s_and_b64 exec, exec, s[10:11]
	s_cbranch_execz .LBB9_39
; %bb.38:                               ;   in Loop: Header=BB9_9 Depth=2
	v_add_co_u32_e64 v53, s[10:11], v27, v21
	v_addc_co_u32_e64 v54, s[10:11], v28, v22, s[10:11]
	ds_write_b16 v39, v47
	ds_write_b64 v0, v[53:54]
.LBB9_39:                               ;   in Loop: Header=BB9_9 Depth=2
	s_or_b64 exec, exec, s[58:59]
	s_or_b64 s[16:17], s[2:3], s[12:13]
	s_nor_b64 s[10:11], vcc, s[16:17]
	s_and_saveexec_b64 s[58:59], s[10:11]
	s_cbranch_execz .LBB9_42
; %bb.40:                               ;   in Loop: Header=BB9_9 Depth=2
	s_waitcnt vmcnt(0)
	ds_read_u16 v47, v39
	v_cmp_u_f16_e64 s[12:13], v44, v44
	s_waitcnt lgkmcnt(0)
	v_cmp_lt_f16_e64 s[10:11], v47, v44
	s_or_b64 s[10:11], s[10:11], s[12:13]
	s_and_b64 exec, exec, s[10:11]
	s_cbranch_execz .LBB9_42
; %bb.41:                               ;   in Loop: Header=BB9_9 Depth=2
	v_add_co_u32_e64 v53, s[10:11], v27, v23
	v_addc_co_u32_e64 v54, s[10:11], v28, v24, s[10:11]
	ds_write_b16 v39, v44
	ds_write_b64 v0, v[53:54]
.LBB9_42:                               ;   in Loop: Header=BB9_9 Depth=2
	s_or_b64 exec, exec, s[58:59]
	s_or_b64 s[12:13], s[2:3], s[14:15]
	s_nor_b64 s[10:11], vcc, s[12:13]
	s_and_saveexec_b64 s[14:15], s[10:11]
	s_cbranch_execz .LBB9_45
; %bb.43:                               ;   in Loop: Header=BB9_9 Depth=2
	s_waitcnt vmcnt(0)
	ds_read_u16 v44, v39
	v_cmp_u_f16_e64 s[10:11], v49, v49
	s_waitcnt lgkmcnt(0)
	v_cmp_lt_f16_e32 vcc, v44, v49
	s_or_b64 s[10:11], vcc, s[10:11]
	s_and_b64 exec, exec, s[10:11]
	s_cbranch_execz .LBB9_45
; %bb.44:                               ;   in Loop: Header=BB9_9 Depth=2
	v_add_co_u32_e32 v27, vcc, v27, v25
	v_addc_co_u32_e32 v28, vcc, v28, v26, vcc
	ds_write_b16 v39, v49
	ds_write_b64 v0, v[27:28]
.LBB9_45:                               ;   in Loop: Header=BB9_9 Depth=2
	s_or_b64 exec, exec, s[14:15]
	s_waitcnt vmcnt(0)
	v_mul_lo_u32 v44, s25, v29
	v_mul_lo_u32 v30, s24, v30
	v_mad_u64_u32 v[27:28], s[10:11], s24, v29, 0
	s_nor_b64 s[10:11], s[6:7], s[56:57]
	v_add3_u32 v28, v28, v30, v44
	s_and_saveexec_b64 s[14:15], s[10:11]
	s_cbranch_execz .LBB9_48
; %bb.46:                               ;   in Loop: Header=BB9_9 Depth=2
	ds_read_u16 v29, v39
	v_cmp_u_f16_e64 s[10:11], v45, v45
	s_waitcnt lgkmcnt(0)
	v_cmp_lt_f16_e32 vcc, v29, v45
	s_or_b64 s[10:11], vcc, s[10:11]
	s_and_b64 exec, exec, s[10:11]
	s_cbranch_execz .LBB9_48
; %bb.47:                               ;   in Loop: Header=BB9_9 Depth=2
	v_add_co_u32_e32 v29, vcc, v27, v21
	v_addc_co_u32_e32 v30, vcc, v28, v22, vcc
	ds_write_b16 v39, v45
	ds_write_b64 v0, v[29:30]
.LBB9_48:                               ;   in Loop: Header=BB9_9 Depth=2
	s_or_b64 exec, exec, s[14:15]
	s_nor_b64 s[10:11], s[6:7], s[16:17]
	s_and_saveexec_b64 s[14:15], s[10:11]
	s_cbranch_execz .LBB9_51
; %bb.49:                               ;   in Loop: Header=BB9_9 Depth=2
	ds_read_u16 v29, v39
	v_cmp_u_f16_e64 s[10:11], v50, v50
	s_waitcnt lgkmcnt(0)
	v_cmp_lt_f16_e32 vcc, v29, v50
	s_or_b64 s[10:11], vcc, s[10:11]
	s_and_b64 exec, exec, s[10:11]
	s_cbranch_execz .LBB9_51
; %bb.50:                               ;   in Loop: Header=BB9_9 Depth=2
	v_add_co_u32_e32 v29, vcc, v27, v23
	v_addc_co_u32_e32 v30, vcc, v28, v24, vcc
	ds_write_b16 v39, v50
	ds_write_b64 v0, v[29:30]
.LBB9_51:                               ;   in Loop: Header=BB9_9 Depth=2
	s_or_b64 exec, exec, s[14:15]
	s_nor_b64 s[6:7], s[6:7], s[12:13]
	s_and_saveexec_b64 s[10:11], s[6:7]
	s_cbranch_execz .LBB9_54
; %bb.52:                               ;   in Loop: Header=BB9_9 Depth=2
	ds_read_u16 v29, v39
	v_cmp_u_f16_e64 s[6:7], v46, v46
	s_waitcnt lgkmcnt(0)
	v_cmp_lt_f16_e32 vcc, v29, v46
	s_or_b64 s[6:7], vcc, s[6:7]
	s_and_b64 exec, exec, s[6:7]
	s_cbranch_execz .LBB9_54
; %bb.53:                               ;   in Loop: Header=BB9_9 Depth=2
	v_add_co_u32_e32 v27, vcc, v27, v25
	v_addc_co_u32_e32 v28, vcc, v28, v26, vcc
	ds_write_b16 v39, v46
	ds_write_b64 v0, v[27:28]
.LBB9_54:                               ;   in Loop: Header=BB9_9 Depth=2
	s_or_b64 exec, exec, s[10:11]
	v_mul_lo_u32 v29, s25, v31
	v_mul_lo_u32 v30, s24, v32
	v_mad_u64_u32 v[27:28], s[6:7], s24, v31, 0
	s_nor_b64 s[6:7], s[8:9], s[56:57]
	v_add3_u32 v28, v28, v30, v29
	s_and_saveexec_b64 s[10:11], s[6:7]
	s_cbranch_execz .LBB9_57
; %bb.55:                               ;   in Loop: Header=BB9_9 Depth=2
	ds_read_u16 v29, v39
	v_cmp_u_f16_e64 s[6:7], v52, v52
	s_waitcnt lgkmcnt(0)
	v_cmp_lt_f16_e32 vcc, v29, v52
	s_or_b64 s[6:7], vcc, s[6:7]
	s_and_b64 exec, exec, s[6:7]
	s_cbranch_execz .LBB9_57
; %bb.56:                               ;   in Loop: Header=BB9_9 Depth=2
	v_add_co_u32_e32 v21, vcc, v27, v21
	v_addc_co_u32_e32 v22, vcc, v28, v22, vcc
	ds_write_b16 v39, v52
	ds_write_b64 v0, v[21:22]
.LBB9_57:                               ;   in Loop: Header=BB9_9 Depth=2
	s_or_b64 exec, exec, s[10:11]
	s_nor_b64 s[6:7], s[8:9], s[16:17]
	s_and_saveexec_b64 s[10:11], s[6:7]
	s_cbranch_execz .LBB9_60
; %bb.58:                               ;   in Loop: Header=BB9_9 Depth=2
	ds_read_u16 v21, v39
	v_cmp_u_f16_e64 s[6:7], v48, v48
	s_waitcnt lgkmcnt(0)
	v_cmp_lt_f16_e32 vcc, v21, v48
	s_or_b64 s[6:7], vcc, s[6:7]
	s_and_b64 exec, exec, s[6:7]
	s_cbranch_execz .LBB9_60
; %bb.59:                               ;   in Loop: Header=BB9_9 Depth=2
	v_add_co_u32_e32 v21, vcc, v27, v23
	v_addc_co_u32_e32 v22, vcc, v28, v24, vcc
	ds_write_b16 v39, v48
	ds_write_b64 v0, v[21:22]
.LBB9_60:                               ;   in Loop: Header=BB9_9 Depth=2
	s_or_b64 exec, exec, s[10:11]
	s_nor_b64 s[6:7], s[8:9], s[12:13]
	s_and_saveexec_b64 s[8:9], s[6:7]
	s_cbranch_execz .LBB9_63
; %bb.61:                               ;   in Loop: Header=BB9_9 Depth=2
	ds_read_u16 v21, v39
	v_cmp_u_f16_e64 s[6:7], v51, v51
	s_waitcnt lgkmcnt(0)
	v_cmp_lt_f16_e32 vcc, v21, v51
	s_or_b64 s[6:7], vcc, s[6:7]
	s_and_b64 exec, exec, s[6:7]
	s_cbranch_execz .LBB9_63
; %bb.62:                               ;   in Loop: Header=BB9_9 Depth=2
	v_add_co_u32_e32 v21, vcc, v27, v25
	v_addc_co_u32_e32 v22, vcc, v28, v26, vcc
	ds_write_b16 v39, v51
	ds_write_b64 v0, v[21:22]
.LBB9_63:                               ;   in Loop: Header=BB9_9 Depth=2
	s_or_b64 exec, exec, s[8:9]
	s_branch .LBB9_17
.LBB9_64:                               ;   in Loop: Header=BB9_9 Depth=2
	v_cmp_lt_i64_e32 vcc, v[13:14], v[15:16]
	s_and_saveexec_b64 s[10:11], vcc
	s_cbranch_execz .LBB9_75
; %bb.65:                               ;   in Loop: Header=BB9_9 Depth=2
	v_cmp_lt_i64_e32 vcc, v[17:18], v[19:20]
	v_mov_b32_e32 v22, v14
	s_mov_b64 s[12:13], 0
	v_mov_b32_e32 v21, v13
	s_branch .LBB9_67
.LBB9_66:                               ;   in Loop: Header=BB9_67 Depth=3
	s_or_b64 exec, exec, s[14:15]
	v_mov_b32_e32 v23, s31
	v_add_co_u32_e64 v21, s[6:7], s30, v21
	v_addc_co_u32_e64 v22, s[6:7], v22, v23, s[6:7]
	v_cmp_ge_i64_e64 s[6:7], v[21:22], v[15:16]
	s_or_b64 s[12:13], s[6:7], s[12:13]
	s_andn2_b64 exec, exec, s[12:13]
	s_cbranch_execz .LBB9_75
.LBB9_67:                               ;   Parent Loop BB9_6 Depth=1
                                        ;     Parent Loop BB9_9 Depth=2
                                        ; =>    This Loop Header: Depth=3
                                        ;         Child Loop BB9_70 Depth 4
                                        ;           Child Loop BB9_73 Depth 5
	s_and_saveexec_b64 s[14:15], vcc
	s_cbranch_execz .LBB9_66
; %bb.68:                               ;   in Loop: Header=BB9_67 Depth=3
	v_mul_lo_u32 v25, v22, s40
	v_mul_lo_u32 v26, v21, s41
	v_mad_u64_u32 v[23:24], s[6:7], v21, s40, 0
	v_mul_lo_u32 v28, v22, s24
	v_mul_lo_u32 v29, v21, s25
	v_add3_u32 v24, v24, v26, v25
	v_lshlrev_b64 v[25:26], 1, v[23:24]
	v_mad_u64_u32 v[23:24], s[6:7], v21, s24, 0
	v_mov_b32_e32 v27, s62
	v_add_co_u32_e64 v44, s[6:7], s61, v25
	v_addc_co_u32_e64 v45, s[6:7], v27, v26, s[6:7]
	v_mov_b32_e32 v26, v18
	v_add3_u32 v24, v24, v29, v28
	s_mov_b64 s[16:17], 0
	v_mov_b32_e32 v25, v17
	s_branch .LBB9_70
.LBB9_69:                               ;   in Loop: Header=BB9_70 Depth=4
	s_or_b64 exec, exec, s[56:57]
	v_mov_b32_e32 v27, s71
	v_add_co_u32_e64 v25, s[6:7], s80, v25
	v_addc_co_u32_e64 v26, s[6:7], v26, v27, s[6:7]
	v_cmp_ge_i64_e64 s[6:7], v[25:26], v[19:20]
	s_or_b64 s[16:17], s[6:7], s[16:17]
	s_andn2_b64 exec, exec, s[16:17]
	s_cbranch_execz .LBB9_66
.LBB9_70:                               ;   Parent Loop BB9_6 Depth=1
                                        ;     Parent Loop BB9_9 Depth=2
                                        ;       Parent Loop BB9_67 Depth=3
                                        ; =>      This Loop Header: Depth=4
                                        ;           Child Loop BB9_73 Depth 5
	s_and_saveexec_b64 s[56:57], s[4:5]
	s_cbranch_execz .LBB9_69
; %bb.71:                               ;   in Loop: Header=BB9_70 Depth=4
	v_mul_lo_u32 v29, v26, s42
	v_mul_lo_u32 v30, v25, s43
	v_mad_u64_u32 v[27:28], s[6:7], v25, s42, 0
	v_mov_b32_e32 v32, v2
	s_mov_b64 s[58:59], 0
	v_add3_u32 v28, v28, v30, v29
	v_lshlrev_b64 v[27:28], 1, v[27:28]
	v_mov_b32_e32 v30, v4
	v_add_co_u32_e64 v46, s[6:7], v44, v27
	v_addc_co_u32_e64 v47, s[6:7], v45, v28, s[6:7]
	v_add_co_u32_e64 v27, s[6:7], v25, v23
	v_addc_co_u32_e64 v28, s[6:7], v26, v24, s[6:7]
	v_mov_b32_e32 v48, v41
	v_mov_b32_e32 v49, v40
	;; [unrolled: 1-line block ×4, first 2 shown]
	s_branch .LBB9_73
.LBB9_72:                               ;   in Loop: Header=BB9_73 Depth=5
	s_or_b64 exec, exec, s[6:7]
	v_mov_b32_e32 v50, s29
	v_add_co_u32_e64 v31, s[6:7], s28, v31
	v_addc_co_u32_e64 v32, s[6:7], v32, v50, s[6:7]
	v_mov_b32_e32 v50, s76
	v_add_co_u32_e64 v29, s[6:7], s77, v29
	v_addc_co_u32_e64 v30, s[6:7], v30, v50, s[6:7]
	v_cmp_le_i64_e64 s[6:7], s[20:21], v[31:32]
	v_add_u32_e32 v49, s78, v49
	s_or_b64 s[58:59], s[6:7], s[58:59]
	v_add_u32_e32 v48, s79, v48
	s_andn2_b64 exec, exec, s[58:59]
	s_cbranch_execz .LBB9_69
.LBB9_73:                               ;   Parent Loop BB9_6 Depth=1
                                        ;     Parent Loop BB9_9 Depth=2
                                        ;       Parent Loop BB9_67 Depth=3
                                        ;         Parent Loop BB9_70 Depth=4
                                        ; =>        This Inner Loop Header: Depth=5
	v_lshlrev_b64 v[50:51], 1, v[29:30]
	v_add_co_u32_e64 v50, s[6:7], v46, v50
	v_addc_co_u32_e64 v51, s[6:7], v47, v51, s[6:7]
	global_load_ushort v50, v[50:51], off
	ds_read_u16 v51, v49
	s_waitcnt vmcnt(0) lgkmcnt(0)
	v_cmp_lt_f16_e64 s[6:7], v51, v50
	v_cmp_u_f16_e64 s[8:9], v50, v50
	s_or_b64 s[8:9], s[6:7], s[8:9]
	s_and_saveexec_b64 s[6:7], s[8:9]
	s_cbranch_execz .LBB9_72
; %bb.74:                               ;   in Loop: Header=BB9_73 Depth=5
	ds_write_b16 v49, v50
	ds_write_b64 v48, v[27:28]
	s_branch .LBB9_72
.LBB9_75:                               ;   in Loop: Header=BB9_9 Depth=2
	s_or_b64 exec, exec, s[10:11]
	s_and_saveexec_b64 s[6:7], s[4:5]
	s_cbranch_execz .LBB9_8
.LBB9_76:                               ;   in Loop: Header=BB9_9 Depth=2
	v_add_co_u32_e32 v19, vcc, v11, v43
	v_addc_co_u32_e32 v20, vcc, v12, v6, vcc
	v_lshlrev_b64 v[17:18], 3, v[19:20]
	v_mov_b32_e32 v6, s27
	v_add_co_u32_e32 v17, vcc, s26, v17
	v_lshlrev_b64 v[19:20], 1, v[19:20]
	v_addc_co_u32_e32 v6, vcc, v6, v18, vcc
	v_mov_b32_e32 v22, s37
	v_add_co_u32_e32 v19, vcc, s36, v19
	v_addc_co_u32_e32 v20, vcc, v22, v20, vcc
	v_mul_lo_u32 v6, s20, v6
	v_mul_lo_u32 v21, s21, v17
	v_mad_u64_u32 v[17:18], s[8:9], s20, v17, v[7:8]
	v_mul_lo_u32 v22, s20, v20
	v_mul_lo_u32 v23, s21, v19
	v_mad_u64_u32 v[19:20], s[8:9], s20, v19, v[9:10]
	v_add3_u32 v18, v21, v18, v6
	s_mov_b64 s[8:9], 0
	v_add3_u32 v20, v23, v20, v22
	v_mov_b32_e32 v22, v2
	v_mov_b32_e32 v23, v41
	;; [unrolled: 1-line block ×4, first 2 shown]
.LBB9_77:                               ;   Parent Loop BB9_6 Depth=1
                                        ;     Parent Loop BB9_9 Depth=2
                                        ; =>    This Inner Loop Header: Depth=3
	ds_read_u16 v27, v24
	ds_read_b64 v[25:26], v23
	v_mov_b32_e32 v28, s29
	v_add_co_u32_e32 v21, vcc, s28, v21
	v_addc_co_u32_e32 v22, vcc, v22, v28, vcc
	v_cmp_le_i64_e32 vcc, s[20:21], v[21:22]
	v_mov_b32_e32 v6, v5
	ds_write_b16 v24, v42
	v_mov_b32_e32 v29, s45
	ds_write_b64 v23, v[5:6]
	s_or_b64 s[8:9], vcc, s[8:9]
	s_waitcnt lgkmcnt(3)
	global_store_short v[19:20], v27, off
	s_waitcnt lgkmcnt(2)
	global_store_dwordx2 v[17:18], v[25:26], off
	v_add_co_u32_e32 v17, vcc, s44, v17
	v_addc_co_u32_e32 v18, vcc, v18, v29, vcc
	v_mov_b32_e32 v30, s49
	v_add_co_u32_e32 v19, vcc, s48, v19
	v_add_u32_e32 v24, s78, v24
	v_add_u32_e32 v23, s79, v23
	v_addc_co_u32_e32 v20, vcc, v20, v30, vcc
	s_andn2_b64 exec, exec, s[8:9]
	s_cbranch_execnz .LBB9_77
	s_branch .LBB9_8
.LBB9_78:
	s_endpgm
	.section	.rodata,"a",@progbits
	.p2align	6, 0x0
	.amdhsa_kernel _ZN2at6native12_GLOBAL__N_121max_pool_forward_nhwcIN3c104HalfElEEvPKT_iT0_S8_S8_S8_S8_iiiiiiiiS8_S8_S8_S8_iiPS5_Pl
		.amdhsa_group_segment_fixed_size 0
		.amdhsa_private_segment_fixed_size 0
		.amdhsa_kernarg_size 400
		.amdhsa_user_sgpr_count 6
		.amdhsa_user_sgpr_private_segment_buffer 1
		.amdhsa_user_sgpr_dispatch_ptr 0
		.amdhsa_user_sgpr_queue_ptr 0
		.amdhsa_user_sgpr_kernarg_segment_ptr 1
		.amdhsa_user_sgpr_dispatch_id 0
		.amdhsa_user_sgpr_flat_scratch_init 0
		.amdhsa_user_sgpr_private_segment_size 0
		.amdhsa_uses_dynamic_stack 0
		.amdhsa_system_sgpr_private_segment_wavefront_offset 0
		.amdhsa_system_sgpr_workgroup_id_x 1
		.amdhsa_system_sgpr_workgroup_id_y 1
		.amdhsa_system_sgpr_workgroup_id_z 1
		.amdhsa_system_sgpr_workgroup_info 0
		.amdhsa_system_vgpr_workitem_id 2
		.amdhsa_next_free_vgpr 62
		.amdhsa_next_free_sgpr 81
		.amdhsa_reserve_vcc 1
		.amdhsa_reserve_flat_scratch 0
		.amdhsa_float_round_mode_32 0
		.amdhsa_float_round_mode_16_64 0
		.amdhsa_float_denorm_mode_32 3
		.amdhsa_float_denorm_mode_16_64 3
		.amdhsa_dx10_clamp 1
		.amdhsa_ieee_mode 1
		.amdhsa_fp16_overflow 0
		.amdhsa_exception_fp_ieee_invalid_op 0
		.amdhsa_exception_fp_denorm_src 0
		.amdhsa_exception_fp_ieee_div_zero 0
		.amdhsa_exception_fp_ieee_overflow 0
		.amdhsa_exception_fp_ieee_underflow 0
		.amdhsa_exception_fp_ieee_inexact 0
		.amdhsa_exception_int_div_zero 0
	.end_amdhsa_kernel
	.section	.text._ZN2at6native12_GLOBAL__N_121max_pool_forward_nhwcIN3c104HalfElEEvPKT_iT0_S8_S8_S8_S8_iiiiiiiiS8_S8_S8_S8_iiPS5_Pl,"axG",@progbits,_ZN2at6native12_GLOBAL__N_121max_pool_forward_nhwcIN3c104HalfElEEvPKT_iT0_S8_S8_S8_S8_iiiiiiiiS8_S8_S8_S8_iiPS5_Pl,comdat
.Lfunc_end9:
	.size	_ZN2at6native12_GLOBAL__N_121max_pool_forward_nhwcIN3c104HalfElEEvPKT_iT0_S8_S8_S8_S8_iiiiiiiiS8_S8_S8_S8_iiPS5_Pl, .Lfunc_end9-_ZN2at6native12_GLOBAL__N_121max_pool_forward_nhwcIN3c104HalfElEEvPKT_iT0_S8_S8_S8_S8_iiiiiiiiS8_S8_S8_S8_iiPS5_Pl
                                        ; -- End function
	.set _ZN2at6native12_GLOBAL__N_121max_pool_forward_nhwcIN3c104HalfElEEvPKT_iT0_S8_S8_S8_S8_iiiiiiiiS8_S8_S8_S8_iiPS5_Pl.num_vgpr, 62
	.set _ZN2at6native12_GLOBAL__N_121max_pool_forward_nhwcIN3c104HalfElEEvPKT_iT0_S8_S8_S8_S8_iiiiiiiiS8_S8_S8_S8_iiPS5_Pl.num_agpr, 0
	.set _ZN2at6native12_GLOBAL__N_121max_pool_forward_nhwcIN3c104HalfElEEvPKT_iT0_S8_S8_S8_S8_iiiiiiiiS8_S8_S8_S8_iiPS5_Pl.numbered_sgpr, 81
	.set _ZN2at6native12_GLOBAL__N_121max_pool_forward_nhwcIN3c104HalfElEEvPKT_iT0_S8_S8_S8_S8_iiiiiiiiS8_S8_S8_S8_iiPS5_Pl.num_named_barrier, 0
	.set _ZN2at6native12_GLOBAL__N_121max_pool_forward_nhwcIN3c104HalfElEEvPKT_iT0_S8_S8_S8_S8_iiiiiiiiS8_S8_S8_S8_iiPS5_Pl.private_seg_size, 0
	.set _ZN2at6native12_GLOBAL__N_121max_pool_forward_nhwcIN3c104HalfElEEvPKT_iT0_S8_S8_S8_S8_iiiiiiiiS8_S8_S8_S8_iiPS5_Pl.uses_vcc, 1
	.set _ZN2at6native12_GLOBAL__N_121max_pool_forward_nhwcIN3c104HalfElEEvPKT_iT0_S8_S8_S8_S8_iiiiiiiiS8_S8_S8_S8_iiPS5_Pl.uses_flat_scratch, 0
	.set _ZN2at6native12_GLOBAL__N_121max_pool_forward_nhwcIN3c104HalfElEEvPKT_iT0_S8_S8_S8_S8_iiiiiiiiS8_S8_S8_S8_iiPS5_Pl.has_dyn_sized_stack, 0
	.set _ZN2at6native12_GLOBAL__N_121max_pool_forward_nhwcIN3c104HalfElEEvPKT_iT0_S8_S8_S8_S8_iiiiiiiiS8_S8_S8_S8_iiPS5_Pl.has_recursion, 0
	.set _ZN2at6native12_GLOBAL__N_121max_pool_forward_nhwcIN3c104HalfElEEvPKT_iT0_S8_S8_S8_S8_iiiiiiiiS8_S8_S8_S8_iiPS5_Pl.has_indirect_call, 0
	.section	.AMDGPU.csdata,"",@progbits
; Kernel info:
; codeLenInByte = 4780
; TotalNumSgprs: 85
; NumVgprs: 62
; ScratchSize: 0
; MemoryBound: 0
; FloatMode: 240
; IeeeMode: 1
; LDSByteSize: 0 bytes/workgroup (compile time only)
; SGPRBlocks: 10
; VGPRBlocks: 15
; NumSGPRsForWavesPerEU: 85
; NumVGPRsForWavesPerEU: 62
; Occupancy: 4
; WaveLimiterHint : 1
; COMPUTE_PGM_RSRC2:SCRATCH_EN: 0
; COMPUTE_PGM_RSRC2:USER_SGPR: 6
; COMPUTE_PGM_RSRC2:TRAP_HANDLER: 0
; COMPUTE_PGM_RSRC2:TGID_X_EN: 1
; COMPUTE_PGM_RSRC2:TGID_Y_EN: 1
; COMPUTE_PGM_RSRC2:TGID_Z_EN: 1
; COMPUTE_PGM_RSRC2:TIDIG_COMP_CNT: 2
	.section	.text._ZN2at6native12_GLOBAL__N_121max_pool_forward_nchwIN3c104HalfEiEEvT0_PKT_llliiiiiiiiiiPS6_Pl,"axG",@progbits,_ZN2at6native12_GLOBAL__N_121max_pool_forward_nchwIN3c104HalfEiEEvT0_PKT_llliiiiiiiiiiPS6_Pl,comdat
	.globl	_ZN2at6native12_GLOBAL__N_121max_pool_forward_nchwIN3c104HalfEiEEvT0_PKT_llliiiiiiiiiiPS6_Pl ; -- Begin function _ZN2at6native12_GLOBAL__N_121max_pool_forward_nchwIN3c104HalfEiEEvT0_PKT_llliiiiiiiiiiPS6_Pl
	.p2align	8
	.type	_ZN2at6native12_GLOBAL__N_121max_pool_forward_nchwIN3c104HalfEiEEvT0_PKT_llliiiiiiiiiiPS6_Pl,@function
_ZN2at6native12_GLOBAL__N_121max_pool_forward_nchwIN3c104HalfEiEEvT0_PKT_llliiiiiiiiiiPS6_Pl: ; @_ZN2at6native12_GLOBAL__N_121max_pool_forward_nchwIN3c104HalfEiEEvT0_PKT_llliiiiiiiiiiPS6_Pl
; %bb.0:
	s_load_dword s24, s[4:5], 0x0
	s_load_dword s2, s[4:5], 0x6c
	v_mov_b32_e32 v1, 0
	v_mov_b32_e32 v2, s6
	s_waitcnt lgkmcnt(0)
	s_ashr_i32 s25, s24, 31
	s_add_u32 s0, s4, 0x60
	s_addc_u32 s1, s5, 0
	s_and_b32 s2, s2, 0xffff
	v_mad_u64_u32 v[0:1], s[6:7], s2, v2, v[0:1]
	v_cmp_gt_i64_e32 vcc, s[24:25], v[0:1]
	s_and_saveexec_b64 s[6:7], vcc
	s_cbranch_execz .LBB10_11
; %bb.1:
	s_load_dwordx8 s[8:15], s[4:5], 0x28
	s_load_dwordx2 s[6:7], s[4:5], 0x48
	s_load_dwordx2 s[26:27], s[4:5], 0x8
	s_load_dwordx4 s[16:19], s[4:5], 0x18
	s_load_dwordx4 s[20:23], s[4:5], 0x50
	s_load_dword s3, s[0:1], 0x0
	s_waitcnt lgkmcnt(0)
	s_abs_i32 s33, s9
	v_cvt_f32_u32_e32 v2, s33
	s_abs_i32 s50, s8
	s_max_u32 s49, s6, 1
	v_cvt_f32_u32_e32 v3, s50
	s_max_u32 s51, s7, 1
	v_cvt_f32_u32_e32 v5, s49
	v_rcp_iflag_f32_e32 v2, v2
	v_cvt_f32_u32_e32 v6, s51
	v_rcp_iflag_f32_e32 v3, v3
	v_rcp_iflag_f32_e32 v5, v5
	v_mul_f32_e32 v2, 0x4f7ffffe, v2
	v_rcp_iflag_f32_e32 v6, v6
	v_cvt_u32_f32_e32 v2, v2
	s_add_i32 s0, s10, -1
	v_mul_f32_e32 v3, 0x4f7ffffe, v3
	s_mul_i32 s46, s6, s0
	s_add_i32 s0, s11, -1
	v_cvt_u32_f32_e32 v3, v3
	v_mul_f32_e32 v5, 0x4f7ffffe, v5
	s_mul_i32 s47, s7, s0
	s_sub_i32 s0, 0, s33
	v_cvt_u32_f32_e32 v5, v5
	v_mul_f32_e32 v6, 0x4f7ffffe, v6
	v_mul_lo_u32 v4, s0, v2
	v_cvt_u32_f32_e32 v6, v6
	s_sub_i32 s0, 0, s50
	v_mul_lo_u32 v7, s0, v3
	s_sub_i32 s0, 0, s49
	v_mul_lo_u32 v9, s0, v5
	s_sub_i32 s0, 0, s51
	v_mul_hi_u32 v4, v2, v4
	v_mul_lo_u32 v10, s0, v6
	s_mul_i32 s0, s18, s17
	s_mul_hi_u32 s1, s18, s16
	s_add_i32 s0, s1, s0
	s_mul_i32 s1, s19, s16
	s_add_i32 s1, s0, s1
	s_mul_i32 s0, s18, s16
	v_add_u32_e32 v8, v2, v4
	v_mul_hi_u32 v2, v3, v7
	v_mul_hi_u32 v4, v5, v9
	;; [unrolled: 1-line block ×3, first 2 shown]
	s_lshl_b64 s[10:11], s[0:1], 1
	s_ashr_i32 s0, s6, 31
	s_mul_hi_u32 s1, s18, s6
	s_mul_i32 s0, s18, s0
	s_add_i32 s0, s1, s0
	s_mul_i32 s1, s19, s6
	s_add_i32 s29, s0, s1
	s_mul_i32 s28, s6, s18
	s_ashr_i32 s1, s7, 31
	s_mov_b32 s0, s7
	s_add_i32 s46, s46, 1
	s_add_i32 s47, s47, 1
	s_mul_i32 s48, s3, s2
	s_ashr_i32 s52, s9, 31
	s_ashr_i32 s53, s8, 31
	v_add_u32_e32 v9, v3, v2
	v_add_u32_e32 v10, v5, v4
	v_add_u32_e32 v11, v6, v7
	s_sub_i32 s17, 0, s15
	s_lshl_b64 s[30:31], s[28:29], 1
	s_lshl_b64 s[34:35], s[0:1], 1
	s_mov_b64 s[36:37], 0
	s_branch .LBB10_4
.LBB10_2:                               ;   in Loop: Header=BB10_4 Depth=1
	s_or_b64 exec, exec, s[40:41]
.LBB10_3:                               ;   in Loop: Header=BB10_4 Depth=1
	s_or_b64 exec, exec, s[38:39]
	v_lshlrev_b64 v[3:4], 1, v[0:1]
	v_mov_b32_e32 v5, s21
	v_add_co_u32_e32 v3, vcc, s20, v3
	v_addc_co_u32_e32 v4, vcc, v5, v4, vcc
	global_store_short v[3:4], v15, off
	v_lshlrev_b64 v[4:5], 3, v[0:1]
	v_add_co_u32_e32 v0, vcc, s48, v0
	v_addc_co_u32_e32 v1, vcc, 0, v1, vcc
	v_cmp_le_i64_e32 vcc, s[24:25], v[0:1]
	v_mov_b32_e32 v6, s23
	v_add_co_u32_e64 v4, s[0:1], s22, v4
	v_ashrrev_i32_e32 v3, 31, v2
	v_addc_co_u32_e64 v5, s[0:1], v6, v5, s[0:1]
	s_or_b64 s[36:37], vcc, s[36:37]
	global_store_dwordx2 v[4:5], v[2:3], off
	s_andn2_b64 exec, exec, s[36:37]
	s_cbranch_execz .LBB10_11
.LBB10_4:                               ; =>This Loop Header: Depth=1
                                        ;     Child Loop BB10_7 Depth 2
                                        ;       Child Loop BB10_9 Depth 3
	v_sub_u32_e32 v2, 0, v0
	v_max_i32_e32 v2, v0, v2
	v_mul_hi_u32 v3, v2, v8
	v_ashrrev_i32_e32 v5, 31, v0
	v_xor_b32_e32 v5, s52, v5
	v_mov_b32_e32 v15, 0xfffffc00
	v_mul_lo_u32 v4, v3, s33
	v_add_u32_e32 v6, 1, v3
	v_sub_u32_e32 v2, v2, v4
	v_cmp_le_u32_e32 vcc, s33, v2
	v_subrev_u32_e32 v4, s33, v2
	v_cndmask_b32_e32 v3, v3, v6, vcc
	v_cndmask_b32_e32 v2, v2, v4, vcc
	v_add_u32_e32 v4, 1, v3
	v_cmp_le_u32_e32 vcc, s33, v2
	v_cndmask_b32_e32 v2, v3, v4, vcc
	v_xor_b32_e32 v2, v2, v5
	v_sub_u32_e32 v2, v2, v5
	v_sub_u32_e32 v3, 0, v2
	v_max_i32_e32 v3, v2, v3
	v_mul_hi_u32 v4, v3, v9
	v_ashrrev_i32_e32 v6, 31, v2
	v_xor_b32_e32 v6, s53, v6
	v_mul_lo_u32 v5, v4, s50
	v_add_u32_e32 v7, 1, v4
	v_sub_u32_e32 v3, v3, v5
	v_cmp_le_u32_e32 vcc, s50, v3
	v_subrev_u32_e32 v5, s50, v3
	v_cndmask_b32_e32 v4, v4, v7, vcc
	v_cndmask_b32_e32 v3, v3, v5, vcc
	v_add_u32_e32 v5, 1, v4
	v_cmp_le_u32_e32 vcc, s50, v3
	v_cndmask_b32_e32 v3, v4, v5, vcc
	v_xor_b32_e32 v3, v3, v6
	v_sub_u32_e32 v5, v3, v6
	v_mul_lo_u32 v3, v5, s8
	v_mul_lo_u32 v4, v2, s9
	v_sub_u32_e32 v2, v2, v3
	v_mul_lo_u32 v3, v2, s12
	v_sub_u32_e32 v2, v0, v4
	v_mul_lo_u32 v7, v2, s13
	v_subrev_u32_e32 v2, s14, v3
	v_max_i32_e32 v4, 0, v2
	v_add_u32_e32 v4, s14, v4
	v_cmp_ne_u32_e32 vcc, v4, v3
	v_cndmask_b32_e64 v6, 0, 1, vcc
	v_add_u32_e32 v3, v3, v6
	v_sub_u32_e32 v3, v4, v3
	v_mul_hi_u32 v4, v3, v10
	v_subrev_u32_e32 v6, s15, v7
	v_max_i32_e32 v13, 0, v6
	v_add_u32_e32 v13, s15, v13
	v_mul_lo_u32 v12, v4, s49
	v_add_u32_e32 v14, 1, v4
	v_sub_u32_e32 v3, v3, v12
	v_cmp_le_u32_e64 s[0:1], s49, v3
	v_subrev_u32_e32 v12, s49, v3
	v_cndmask_b32_e64 v4, v4, v14, s[0:1]
	v_cndmask_b32_e64 v3, v3, v12, s[0:1]
	v_cmp_ne_u32_e64 s[0:1], v13, v7
	v_cndmask_b32_e64 v12, 0, 1, s[0:1]
	v_add_u32_e32 v12, v7, v12
	v_sub_u32_e32 v12, v13, v12
	v_mul_hi_u32 v13, v12, v11
	v_add_u32_e32 v14, 1, v4
	v_cmp_le_u32_e64 s[2:3], s49, v3
	v_cndmask_b32_e64 v3, v4, v14, s[2:3]
	v_mul_lo_u32 v14, v13, s51
	v_addc_co_u32_e32 v3, vcc, 0, v3, vcc
	v_mad_u64_u32 v[3:4], s[2:3], s6, v3, v[2:3]
	v_sub_u32_e32 v4, v12, v14
	v_add_u32_e32 v12, 1, v13
	v_cmp_le_u32_e32 vcc, s51, v4
	v_cndmask_b32_e32 v12, v13, v12, vcc
	v_subrev_u32_e32 v13, s51, v4
	v_cndmask_b32_e32 v4, v4, v13, vcc
	v_add_u32_e32 v13, 1, v12
	v_cmp_le_u32_e32 vcc, s51, v4
	v_cndmask_b32_e32 v4, v12, v13, vcc
	v_addc_co_u32_e64 v4, vcc, 0, v4, s[0:1]
	v_mul_lo_u32 v4, s7, v4
	v_mul_lo_u32 v12, v3, s18
	v_add_u32_e32 v2, s46, v2
	v_min_i32_e32 v13, s16, v2
	v_add_u32_e32 v14, v6, v4
	v_add_u32_e32 v2, v14, v12
	v_cmp_lt_i32_e32 vcc, v3, v13
	s_and_saveexec_b64 s[38:39], vcc
	s_cbranch_execz .LBB10_3
; %bb.5:                                ;   in Loop: Header=BB10_4 Depth=1
	v_add3_u32 v15, s17, v4, v7
	v_ashrrev_i32_e32 v17, 31, v3
	v_ashrrev_i32_e32 v16, 31, v15
	v_mad_u64_u32 v[15:16], s[0:1], s18, v3, v[15:16]
	v_mul_lo_u32 v4, s19, v3
	v_mul_lo_u32 v7, s18, v17
	v_ashrrev_i32_e32 v19, 31, v5
	v_add_u32_e32 v6, s47, v6
	s_mov_b64 s[40:41], 0
	v_add3_u32 v16, v4, v16, v7
	v_lshlrev_b64 v[15:16], 1, v[15:16]
	v_mul_lo_u32 v4, s11, v5
	v_mad_u64_u32 v[17:18], s[0:1], s10, v5, v[15:16]
	v_mul_lo_u32 v5, s10, v19
	v_min_i32_e32 v16, s18, v6
	v_mov_b32_e32 v6, s27
	v_cmp_lt_i32_e32 vcc, v14, v16
	v_add3_u32 v5, v4, v18, v5
	v_add_co_u32_e64 v4, s[0:1], s26, v17
	v_addc_co_u32_e64 v5, s[0:1], v6, v5, s[0:1]
	v_mov_b32_e32 v15, 0xfffffc00
	s_branch .LBB10_7
.LBB10_6:                               ;   in Loop: Header=BB10_7 Depth=2
	s_or_b64 exec, exec, s[42:43]
	v_mov_b32_e32 v6, s31
	v_add_co_u32_e64 v4, s[0:1], s30, v4
	v_add_u32_e32 v3, s6, v3
	v_addc_co_u32_e64 v5, s[0:1], v5, v6, s[0:1]
	v_cmp_ge_i32_e64 s[0:1], v3, v13
	s_or_b64 s[40:41], s[0:1], s[40:41]
	v_add_u32_e32 v12, s28, v12
	s_andn2_b64 exec, exec, s[40:41]
	s_cbranch_execz .LBB10_2
.LBB10_7:                               ;   Parent Loop BB10_4 Depth=1
                                        ; =>  This Loop Header: Depth=2
                                        ;       Child Loop BB10_9 Depth 3
	s_and_saveexec_b64 s[42:43], vcc
	s_cbranch_execz .LBB10_6
; %bb.8:                                ;   in Loop: Header=BB10_7 Depth=2
	v_mov_b32_e32 v7, v5
	s_mov_b64 s[44:45], 0
	v_mov_b32_e32 v6, v4
	v_mov_b32_e32 v17, v14
.LBB10_9:                               ;   Parent Loop BB10_4 Depth=1
                                        ;     Parent Loop BB10_7 Depth=2
                                        ; =>    This Inner Loop Header: Depth=3
	global_load_ushort v18, v[6:7], off
	v_mov_b32_e32 v20, s35
	v_add_co_u32_e64 v6, s[0:1], s34, v6
	v_add_u32_e32 v19, v12, v17
	v_add_u32_e32 v17, s7, v17
	v_addc_co_u32_e64 v7, s[0:1], v7, v20, s[0:1]
	v_cmp_ge_i32_e64 s[0:1], v17, v16
	s_waitcnt vmcnt(0)
	v_cmp_gt_f16_e64 s[2:3], v18, v15
	v_cmp_u_f16_e64 s[4:5], v18, v18
	s_or_b64 s[2:3], s[2:3], s[4:5]
	v_cndmask_b32_e64 v15, v15, v18, s[2:3]
	s_or_b64 s[44:45], s[0:1], s[44:45]
	v_cndmask_b32_e64 v2, v2, v19, s[2:3]
	s_andn2_b64 exec, exec, s[44:45]
	s_cbranch_execnz .LBB10_9
; %bb.10:                               ;   in Loop: Header=BB10_7 Depth=2
	s_or_b64 exec, exec, s[44:45]
	s_branch .LBB10_6
.LBB10_11:
	s_endpgm
	.section	.rodata,"a",@progbits
	.p2align	6, 0x0
	.amdhsa_kernel _ZN2at6native12_GLOBAL__N_121max_pool_forward_nchwIN3c104HalfEiEEvT0_PKT_llliiiiiiiiiiPS6_Pl
		.amdhsa_group_segment_fixed_size 0
		.amdhsa_private_segment_fixed_size 0
		.amdhsa_kernarg_size 352
		.amdhsa_user_sgpr_count 6
		.amdhsa_user_sgpr_private_segment_buffer 1
		.amdhsa_user_sgpr_dispatch_ptr 0
		.amdhsa_user_sgpr_queue_ptr 0
		.amdhsa_user_sgpr_kernarg_segment_ptr 1
		.amdhsa_user_sgpr_dispatch_id 0
		.amdhsa_user_sgpr_flat_scratch_init 0
		.amdhsa_user_sgpr_private_segment_size 0
		.amdhsa_uses_dynamic_stack 0
		.amdhsa_system_sgpr_private_segment_wavefront_offset 0
		.amdhsa_system_sgpr_workgroup_id_x 1
		.amdhsa_system_sgpr_workgroup_id_y 0
		.amdhsa_system_sgpr_workgroup_id_z 0
		.amdhsa_system_sgpr_workgroup_info 0
		.amdhsa_system_vgpr_workitem_id 0
		.amdhsa_next_free_vgpr 21
		.amdhsa_next_free_sgpr 54
		.amdhsa_reserve_vcc 1
		.amdhsa_reserve_flat_scratch 0
		.amdhsa_float_round_mode_32 0
		.amdhsa_float_round_mode_16_64 0
		.amdhsa_float_denorm_mode_32 3
		.amdhsa_float_denorm_mode_16_64 3
		.amdhsa_dx10_clamp 1
		.amdhsa_ieee_mode 1
		.amdhsa_fp16_overflow 0
		.amdhsa_exception_fp_ieee_invalid_op 0
		.amdhsa_exception_fp_denorm_src 0
		.amdhsa_exception_fp_ieee_div_zero 0
		.amdhsa_exception_fp_ieee_overflow 0
		.amdhsa_exception_fp_ieee_underflow 0
		.amdhsa_exception_fp_ieee_inexact 0
		.amdhsa_exception_int_div_zero 0
	.end_amdhsa_kernel
	.section	.text._ZN2at6native12_GLOBAL__N_121max_pool_forward_nchwIN3c104HalfEiEEvT0_PKT_llliiiiiiiiiiPS6_Pl,"axG",@progbits,_ZN2at6native12_GLOBAL__N_121max_pool_forward_nchwIN3c104HalfEiEEvT0_PKT_llliiiiiiiiiiPS6_Pl,comdat
.Lfunc_end10:
	.size	_ZN2at6native12_GLOBAL__N_121max_pool_forward_nchwIN3c104HalfEiEEvT0_PKT_llliiiiiiiiiiPS6_Pl, .Lfunc_end10-_ZN2at6native12_GLOBAL__N_121max_pool_forward_nchwIN3c104HalfEiEEvT0_PKT_llliiiiiiiiiiPS6_Pl
                                        ; -- End function
	.set _ZN2at6native12_GLOBAL__N_121max_pool_forward_nchwIN3c104HalfEiEEvT0_PKT_llliiiiiiiiiiPS6_Pl.num_vgpr, 21
	.set _ZN2at6native12_GLOBAL__N_121max_pool_forward_nchwIN3c104HalfEiEEvT0_PKT_llliiiiiiiiiiPS6_Pl.num_agpr, 0
	.set _ZN2at6native12_GLOBAL__N_121max_pool_forward_nchwIN3c104HalfEiEEvT0_PKT_llliiiiiiiiiiPS6_Pl.numbered_sgpr, 54
	.set _ZN2at6native12_GLOBAL__N_121max_pool_forward_nchwIN3c104HalfEiEEvT0_PKT_llliiiiiiiiiiPS6_Pl.num_named_barrier, 0
	.set _ZN2at6native12_GLOBAL__N_121max_pool_forward_nchwIN3c104HalfEiEEvT0_PKT_llliiiiiiiiiiPS6_Pl.private_seg_size, 0
	.set _ZN2at6native12_GLOBAL__N_121max_pool_forward_nchwIN3c104HalfEiEEvT0_PKT_llliiiiiiiiiiPS6_Pl.uses_vcc, 1
	.set _ZN2at6native12_GLOBAL__N_121max_pool_forward_nchwIN3c104HalfEiEEvT0_PKT_llliiiiiiiiiiPS6_Pl.uses_flat_scratch, 0
	.set _ZN2at6native12_GLOBAL__N_121max_pool_forward_nchwIN3c104HalfEiEEvT0_PKT_llliiiiiiiiiiPS6_Pl.has_dyn_sized_stack, 0
	.set _ZN2at6native12_GLOBAL__N_121max_pool_forward_nchwIN3c104HalfEiEEvT0_PKT_llliiiiiiiiiiPS6_Pl.has_recursion, 0
	.set _ZN2at6native12_GLOBAL__N_121max_pool_forward_nchwIN3c104HalfEiEEvT0_PKT_llliiiiiiiiiiPS6_Pl.has_indirect_call, 0
	.section	.AMDGPU.csdata,"",@progbits
; Kernel info:
; codeLenInByte = 1316
; TotalNumSgprs: 58
; NumVgprs: 21
; ScratchSize: 0
; MemoryBound: 0
; FloatMode: 240
; IeeeMode: 1
; LDSByteSize: 0 bytes/workgroup (compile time only)
; SGPRBlocks: 7
; VGPRBlocks: 5
; NumSGPRsForWavesPerEU: 58
; NumVGPRsForWavesPerEU: 21
; Occupancy: 10
; WaveLimiterHint : 0
; COMPUTE_PGM_RSRC2:SCRATCH_EN: 0
; COMPUTE_PGM_RSRC2:USER_SGPR: 6
; COMPUTE_PGM_RSRC2:TRAP_HANDLER: 0
; COMPUTE_PGM_RSRC2:TGID_X_EN: 1
; COMPUTE_PGM_RSRC2:TGID_Y_EN: 0
; COMPUTE_PGM_RSRC2:TGID_Z_EN: 0
; COMPUTE_PGM_RSRC2:TIDIG_COMP_CNT: 0
	.section	.text._ZN2at6native12_GLOBAL__N_121max_pool_forward_nchwIN3c104HalfElEEvT0_PKT_llliiiiiiiiiiPS6_Pl,"axG",@progbits,_ZN2at6native12_GLOBAL__N_121max_pool_forward_nchwIN3c104HalfElEEvT0_PKT_llliiiiiiiiiiPS6_Pl,comdat
	.globl	_ZN2at6native12_GLOBAL__N_121max_pool_forward_nchwIN3c104HalfElEEvT0_PKT_llliiiiiiiiiiPS6_Pl ; -- Begin function _ZN2at6native12_GLOBAL__N_121max_pool_forward_nchwIN3c104HalfElEEvT0_PKT_llliiiiiiiiiiPS6_Pl
	.p2align	8
	.type	_ZN2at6native12_GLOBAL__N_121max_pool_forward_nchwIN3c104HalfElEEvT0_PKT_llliiiiiiiiiiPS6_Pl,@function
_ZN2at6native12_GLOBAL__N_121max_pool_forward_nchwIN3c104HalfElEEvT0_PKT_llliiiiiiiiiiPS6_Pl: ; @_ZN2at6native12_GLOBAL__N_121max_pool_forward_nchwIN3c104HalfElEEvT0_PKT_llliiiiiiiiiiPS6_Pl
; %bb.0:
	s_load_dword s2, s[4:5], 0x6c
	s_load_dwordx4 s[16:19], s[4:5], 0x0
	s_add_u32 s0, s4, 0x60
	v_mov_b32_e32 v2, 0
	s_addc_u32 s1, s5, 0
	s_waitcnt lgkmcnt(0)
	s_and_b32 s2, s2, 0xffff
	v_mov_b32_e32 v1, v2
	v_mov_b32_e32 v3, s6
	v_mad_u64_u32 v[0:1], s[6:7], s2, v3, v[0:1]
	v_cmp_gt_i64_e32 vcc, s[16:17], v[0:1]
	s_and_saveexec_b64 s[6:7], vcc
	s_cbranch_execz .LBB11_27
; %bb.1:
	s_load_dwordx8 s[8:15], s[4:5], 0x28
	s_load_dwordx4 s[20:23], s[4:5], 0x18
	s_load_dwordx2 s[6:7], s[4:5], 0x48
	s_load_dwordx4 s[24:27], s[4:5], 0x50
	s_load_dword s3, s[0:1], 0x0
	s_waitcnt lgkmcnt(0)
	s_add_i32 s0, s10, -1
	s_ashr_i32 s33, s9, 31
	s_mul_i32 s53, s6, s0
	s_add_i32 s0, s11, -1
	s_ashr_i32 s11, s6, 31
	s_mov_b32 s10, s6
	s_mul_i32 s54, s7, s0
	v_cmp_gt_u64_e64 s[0:1], s[10:11], 1
	s_ashr_i32 s44, s8, 31
	s_ashr_i32 s45, s12, 31
	;; [unrolled: 1-line block ×4, first 2 shown]
	s_mov_b32 s50, s13
	s_ashr_i32 s51, s15, 31
	s_add_i32 s53, s53, 1
	s_add_i32 s54, s54, 1
	s_ashr_i32 s13, s7, 31
	s_mov_b32 s46, s12
	s_mov_b32 s12, s7
	s_and_b64 s[0:1], s[0:1], exec
	v_cmp_gt_u64_e64 s[0:1], s[12:13], 1
	s_cselect_b32 s56, s11, 0
	s_cselect_b32 s57, s6, 1
	s_and_b64 s[0:1], s[0:1], exec
	s_mul_i32 s0, s22, s21
	s_mul_hi_u32 s1, s22, s20
	s_cselect_b32 s58, s13, 0
	s_cselect_b32 s59, s7, 1
	s_add_i32 s0, s1, s0
	s_mul_i32 s1, s23, s20
	s_add_i32 s1, s0, s1
	s_mul_i32 s0, s22, s20
	s_mov_b32 s48, s14
	s_mov_b32 s52, s15
	s_mul_i32 s55, s3, s2
	s_lshl_b64 s[14:15], s[0:1], 1
	s_lshl_b64 s[28:29], s[12:13], 1
	s_mov_b64 s[30:31], 0
	s_ashr_i32 s34, s33, 31
	s_branch .LBB11_4
.LBB11_2:                               ;   in Loop: Header=BB11_4 Depth=1
	s_or_b64 exec, exec, s[38:39]
.LBB11_3:                               ;   in Loop: Header=BB11_4 Depth=1
	s_or_b64 exec, exec, s[36:37]
	v_lshlrev_b64 v[3:4], 1, v[0:1]
	v_mov_b32_e32 v5, s25
	v_add_co_u32_e32 v3, vcc, s24, v3
	v_addc_co_u32_e32 v4, vcc, v5, v4, vcc
	global_store_short v[3:4], v12, off
	v_lshlrev_b64 v[3:4], 3, v[0:1]
	v_add_co_u32_e32 v0, vcc, s55, v0
	v_addc_co_u32_e32 v1, vcc, 0, v1, vcc
	v_cmp_le_i64_e32 vcc, s[16:17], v[0:1]
	v_mov_b32_e32 v5, s27
	v_add_co_u32_e64 v3, s[0:1], s26, v3
	v_addc_co_u32_e64 v4, s[0:1], v5, v4, s[0:1]
	s_or_b64 s[30:31], vcc, s[30:31]
	global_store_dwordx2 v[3:4], v[9:10], off
	s_andn2_b64 exec, exec, s[30:31]
	s_cbranch_execz .LBB11_27
.LBB11_4:                               ; =>This Loop Header: Depth=1
                                        ;     Child Loop BB11_23 Depth 2
                                        ;       Child Loop BB11_25 Depth 3
	v_or_b32_e32 v3, s33, v1
	v_cmp_ne_u64_e32 vcc, 0, v[2:3]
                                        ; implicit-def: $vgpr6_vgpr7
	s_and_saveexec_b64 s[0:1], vcc
	s_xor_b64 s[2:3], exec, s[0:1]
	s_cbranch_execz .LBB11_6
; %bb.5:                                ;   in Loop: Header=BB11_4 Depth=1
	s_add_u32 s0, s9, s34
	s_mov_b32 s35, s34
	s_addc_u32 s1, s33, s34
	s_xor_b64 s[4:5], s[0:1], s[34:35]
	v_cvt_f32_u32_e32 v3, s4
	v_cvt_f32_u32_e32 v4, s5
	s_sub_u32 s21, 0, s4
	s_subb_u32 s35, 0, s5
	v_ashrrev_i32_e32 v7, 31, v1
	v_mac_f32_e32 v3, 0x4f800000, v4
	v_rcp_f32_e32 v3, v3
	v_mul_f32_e32 v3, 0x5f7ffffc, v3
	v_mul_f32_e32 v4, 0x2f800000, v3
	v_trunc_f32_e32 v4, v4
	v_mac_f32_e32 v3, 0xcf800000, v4
	v_cvt_u32_f32_e32 v4, v4
	v_cvt_u32_f32_e32 v3, v3
	v_readfirstlane_b32 s36, v4
	v_readfirstlane_b32 s0, v3
	s_mul_i32 s1, s21, s36
	s_mul_hi_u32 s38, s21, s0
	s_mul_i32 s37, s35, s0
	s_add_i32 s1, s38, s1
	s_add_i32 s1, s1, s37
	s_mul_i32 s39, s21, s0
	s_mul_i32 s38, s0, s1
	s_mul_hi_u32 s40, s0, s39
	s_mul_hi_u32 s37, s0, s1
	s_add_u32 s38, s40, s38
	s_addc_u32 s37, 0, s37
	s_mul_hi_u32 s41, s36, s39
	s_mul_i32 s39, s36, s39
	s_add_u32 s38, s38, s39
	s_mul_hi_u32 s40, s36, s1
	s_addc_u32 s37, s37, s41
	s_addc_u32 s38, s40, 0
	s_mul_i32 s1, s36, s1
	s_add_u32 s1, s37, s1
	s_addc_u32 s37, 0, s38
	s_add_u32 s38, s0, s1
	s_cselect_b64 s[0:1], -1, 0
	s_cmp_lg_u64 s[0:1], 0
	s_addc_u32 s36, s36, s37
	s_mul_i32 s0, s21, s36
	s_mul_hi_u32 s1, s21, s38
	s_add_i32 s0, s1, s0
	s_mul_i32 s35, s35, s38
	s_add_i32 s0, s0, s35
	s_mul_i32 s21, s21, s38
	s_mul_hi_u32 s35, s36, s21
	s_mul_i32 s37, s36, s21
	s_mul_i32 s40, s38, s0
	s_mul_hi_u32 s21, s38, s21
	s_mul_hi_u32 s39, s38, s0
	s_add_u32 s21, s21, s40
	s_addc_u32 s39, 0, s39
	s_add_u32 s21, s21, s37
	s_mul_hi_u32 s1, s36, s0
	s_addc_u32 s21, s39, s35
	s_addc_u32 s1, s1, 0
	s_mul_i32 s0, s36, s0
	s_add_u32 s0, s21, s0
	s_addc_u32 s21, 0, s1
	s_add_u32 s35, s38, s0
	s_cselect_b64 s[0:1], -1, 0
	s_cmp_lg_u64 s[0:1], 0
	v_add_co_u32_e32 v3, vcc, v0, v7
	s_addc_u32 s21, s36, s21
	v_xor_b32_e32 v8, v3, v7
	v_mad_u64_u32 v[3:4], s[0:1], v8, s21, 0
	v_mul_hi_u32 v6, v8, s35
	v_addc_co_u32_e32 v5, vcc, v1, v7, vcc
	v_xor_b32_e32 v9, v5, v7
	v_add_co_u32_e32 v10, vcc, v6, v3
	v_addc_co_u32_e32 v11, vcc, 0, v4, vcc
	v_mad_u64_u32 v[3:4], s[0:1], v9, s35, 0
	v_mad_u64_u32 v[5:6], s[0:1], v9, s21, 0
	v_add_co_u32_e32 v3, vcc, v10, v3
	v_addc_co_u32_e32 v3, vcc, v11, v4, vcc
	v_addc_co_u32_e32 v4, vcc, 0, v6, vcc
	v_add_co_u32_e32 v5, vcc, v3, v5
	v_addc_co_u32_e32 v6, vcc, 0, v4, vcc
	v_mul_lo_u32 v10, s5, v5
	v_mul_lo_u32 v11, s4, v6
	v_mad_u64_u32 v[3:4], s[0:1], s4, v5, 0
	v_add3_u32 v4, v4, v11, v10
	v_sub_u32_e32 v10, v9, v4
	v_mov_b32_e32 v11, s5
	v_sub_co_u32_e32 v3, vcc, v8, v3
	v_subb_co_u32_e64 v8, s[0:1], v10, v11, vcc
	v_subrev_co_u32_e64 v10, s[0:1], s4, v3
	v_subbrev_co_u32_e64 v8, s[0:1], 0, v8, s[0:1]
	v_cmp_le_u32_e64 s[0:1], s5, v8
	v_cndmask_b32_e64 v11, 0, -1, s[0:1]
	v_cmp_le_u32_e64 s[0:1], s4, v10
	v_cndmask_b32_e64 v10, 0, -1, s[0:1]
	v_cmp_eq_u32_e64 s[0:1], s5, v8
	v_cndmask_b32_e64 v8, v11, v10, s[0:1]
	v_add_co_u32_e64 v10, s[0:1], 2, v5
	v_subb_co_u32_e32 v4, vcc, v9, v4, vcc
	v_addc_co_u32_e64 v11, s[0:1], 0, v6, s[0:1]
	v_cmp_le_u32_e32 vcc, s5, v4
	v_add_co_u32_e64 v12, s[0:1], 1, v5
	v_cndmask_b32_e64 v9, 0, -1, vcc
	v_cmp_le_u32_e32 vcc, s4, v3
	v_addc_co_u32_e64 v13, s[0:1], 0, v6, s[0:1]
	v_cndmask_b32_e64 v3, 0, -1, vcc
	v_cmp_eq_u32_e32 vcc, s5, v4
	v_cmp_ne_u32_e64 s[0:1], 0, v8
	v_cndmask_b32_e32 v3, v9, v3, vcc
	v_cmp_ne_u32_e32 vcc, 0, v3
	v_cndmask_b32_e64 v4, v12, v10, s[0:1]
	v_cndmask_b32_e64 v8, v13, v11, s[0:1]
	v_cndmask_b32_e32 v4, v5, v4, vcc
	v_xor_b32_e32 v5, s34, v7
	v_cndmask_b32_e32 v3, v6, v8, vcc
	v_xor_b32_e32 v4, v4, v5
	v_xor_b32_e32 v3, v3, v5
	v_sub_co_u32_e32 v6, vcc, v4, v5
	v_subb_co_u32_e32 v7, vcc, v3, v5, vcc
.LBB11_6:                               ;   in Loop: Header=BB11_4 Depth=1
	s_andn2_saveexec_b64 s[0:1], s[2:3]
	s_cbranch_execz .LBB11_8
; %bb.7:                                ;   in Loop: Header=BB11_4 Depth=1
	v_cvt_f32_u32_e32 v3, s9
	s_sub_i32 s2, 0, s9
	v_mov_b32_e32 v7, v2
	v_rcp_iflag_f32_e32 v3, v3
	v_mul_f32_e32 v3, 0x4f7ffffe, v3
	v_cvt_u32_f32_e32 v3, v3
	v_mul_lo_u32 v4, s2, v3
	v_mul_hi_u32 v4, v3, v4
	v_add_u32_e32 v3, v3, v4
	v_mul_hi_u32 v3, v0, v3
	v_mul_lo_u32 v4, v3, s9
	v_add_u32_e32 v5, 1, v3
	v_sub_u32_e32 v4, v0, v4
	v_subrev_u32_e32 v6, s9, v4
	v_cmp_le_u32_e32 vcc, s9, v4
	v_cndmask_b32_e32 v4, v4, v6, vcc
	v_cndmask_b32_e32 v3, v3, v5, vcc
	v_add_u32_e32 v5, 1, v3
	v_cmp_le_u32_e32 vcc, s9, v4
	v_cndmask_b32_e32 v6, v3, v5, vcc
.LBB11_8:                               ;   in Loop: Header=BB11_4 Depth=1
	s_or_b64 exec, exec, s[0:1]
	v_or_b32_e32 v3, s44, v7
	v_cmp_ne_u64_e32 vcc, 0, v[2:3]
                                        ; implicit-def: $vgpr4_vgpr5
	s_and_saveexec_b64 s[0:1], vcc
	s_xor_b64 s[2:3], exec, s[0:1]
	s_cbranch_execz .LBB11_10
; %bb.9:                                ;   in Loop: Header=BB11_4 Depth=1
	s_ashr_i32 s4, s44, 31
	s_add_u32 s0, s8, s4
	s_mov_b32 s5, s4
	s_addc_u32 s1, s44, s4
	s_xor_b64 s[36:37], s[0:1], s[4:5]
	v_cvt_f32_u32_e32 v3, s36
	v_cvt_f32_u32_e32 v4, s37
	s_sub_u32 s5, 0, s36
	s_subb_u32 s21, 0, s37
	v_ashrrev_i32_e32 v5, 31, v7
	v_mac_f32_e32 v3, 0x4f800000, v4
	v_rcp_f32_e32 v3, v3
	v_mul_f32_e32 v3, 0x5f7ffffc, v3
	v_mul_f32_e32 v4, 0x2f800000, v3
	v_trunc_f32_e32 v4, v4
	v_mac_f32_e32 v3, 0xcf800000, v4
	v_cvt_u32_f32_e32 v4, v4
	v_cvt_u32_f32_e32 v3, v3
	v_readfirstlane_b32 s35, v4
	v_readfirstlane_b32 s0, v3
	s_mul_i32 s1, s5, s35
	s_mul_hi_u32 s39, s5, s0
	s_mul_i32 s38, s21, s0
	s_add_i32 s1, s39, s1
	s_add_i32 s1, s1, s38
	s_mul_i32 s40, s5, s0
	s_mul_i32 s39, s0, s1
	s_mul_hi_u32 s41, s0, s40
	s_mul_hi_u32 s38, s0, s1
	s_add_u32 s39, s41, s39
	s_addc_u32 s38, 0, s38
	s_mul_hi_u32 s42, s35, s40
	s_mul_i32 s40, s35, s40
	s_add_u32 s39, s39, s40
	s_mul_hi_u32 s41, s35, s1
	s_addc_u32 s38, s38, s42
	s_addc_u32 s39, s41, 0
	s_mul_i32 s1, s35, s1
	s_add_u32 s1, s38, s1
	s_addc_u32 s38, 0, s39
	s_add_u32 s39, s0, s1
	s_cselect_b64 s[0:1], -1, 0
	s_cmp_lg_u64 s[0:1], 0
	s_addc_u32 s35, s35, s38
	s_mul_i32 s0, s5, s35
	s_mul_hi_u32 s1, s5, s39
	s_add_i32 s0, s1, s0
	s_mul_i32 s21, s21, s39
	s_add_i32 s0, s0, s21
	s_mul_i32 s5, s5, s39
	s_mul_hi_u32 s21, s35, s5
	s_mul_i32 s38, s35, s5
	s_mul_i32 s41, s39, s0
	s_mul_hi_u32 s5, s39, s5
	s_mul_hi_u32 s40, s39, s0
	s_add_u32 s5, s5, s41
	s_addc_u32 s40, 0, s40
	s_add_u32 s5, s5, s38
	s_mul_hi_u32 s1, s35, s0
	s_addc_u32 s5, s40, s21
	s_addc_u32 s1, s1, 0
	s_mul_i32 s0, s35, s0
	s_add_u32 s0, s5, s0
	s_addc_u32 s5, 0, s1
	s_add_u32 s21, s39, s0
	s_cselect_b64 s[0:1], -1, 0
	s_cmp_lg_u64 s[0:1], 0
	v_add_co_u32_e32 v3, vcc, v6, v5
	s_addc_u32 s5, s35, s5
	v_xor_b32_e32 v10, v3, v5
	v_mad_u64_u32 v[3:4], s[0:1], v10, s5, 0
	v_mul_hi_u32 v9, v10, s21
	v_addc_co_u32_e32 v8, vcc, v7, v5, vcc
	v_xor_b32_e32 v11, v8, v5
	v_add_co_u32_e32 v12, vcc, v9, v3
	v_addc_co_u32_e32 v13, vcc, 0, v4, vcc
	v_mad_u64_u32 v[3:4], s[0:1], v11, s21, 0
	v_mad_u64_u32 v[8:9], s[0:1], v11, s5, 0
	v_add_co_u32_e32 v3, vcc, v12, v3
	v_addc_co_u32_e32 v3, vcc, v13, v4, vcc
	v_addc_co_u32_e32 v4, vcc, 0, v9, vcc
	v_add_co_u32_e32 v8, vcc, v3, v8
	v_addc_co_u32_e32 v9, vcc, 0, v4, vcc
	v_mul_lo_u32 v12, s37, v8
	v_mul_lo_u32 v13, s36, v9
	v_mad_u64_u32 v[3:4], s[0:1], s36, v8, 0
	v_xor_b32_e32 v5, s4, v5
	v_add3_u32 v4, v4, v13, v12
	v_sub_u32_e32 v12, v11, v4
	v_mov_b32_e32 v13, s37
	v_sub_co_u32_e32 v3, vcc, v10, v3
	v_subb_co_u32_e64 v10, s[0:1], v12, v13, vcc
	v_subrev_co_u32_e64 v12, s[0:1], s36, v3
	v_subbrev_co_u32_e64 v10, s[0:1], 0, v10, s[0:1]
	v_cmp_le_u32_e64 s[0:1], s37, v10
	v_cndmask_b32_e64 v13, 0, -1, s[0:1]
	v_cmp_le_u32_e64 s[0:1], s36, v12
	v_cndmask_b32_e64 v12, 0, -1, s[0:1]
	v_cmp_eq_u32_e64 s[0:1], s37, v10
	v_cndmask_b32_e64 v10, v13, v12, s[0:1]
	v_add_co_u32_e64 v12, s[0:1], 2, v8
	v_subb_co_u32_e32 v4, vcc, v11, v4, vcc
	v_addc_co_u32_e64 v13, s[0:1], 0, v9, s[0:1]
	v_cmp_le_u32_e32 vcc, s37, v4
	v_add_co_u32_e64 v14, s[0:1], 1, v8
	v_cndmask_b32_e64 v11, 0, -1, vcc
	v_cmp_le_u32_e32 vcc, s36, v3
	v_addc_co_u32_e64 v15, s[0:1], 0, v9, s[0:1]
	v_cndmask_b32_e64 v3, 0, -1, vcc
	v_cmp_eq_u32_e32 vcc, s37, v4
	v_cmp_ne_u32_e64 s[0:1], 0, v10
	v_cndmask_b32_e32 v3, v11, v3, vcc
	v_cmp_ne_u32_e32 vcc, 0, v3
	v_cndmask_b32_e64 v4, v14, v12, s[0:1]
	v_cndmask_b32_e64 v10, v15, v13, s[0:1]
	v_cndmask_b32_e32 v4, v8, v4, vcc
	v_cndmask_b32_e32 v3, v9, v10, vcc
	v_xor_b32_e32 v4, v4, v5
	v_xor_b32_e32 v3, v3, v5
	v_sub_co_u32_e32 v4, vcc, v4, v5
	v_subb_co_u32_e32 v5, vcc, v3, v5, vcc
.LBB11_10:                              ;   in Loop: Header=BB11_4 Depth=1
	s_andn2_saveexec_b64 s[0:1], s[2:3]
	s_cbranch_execz .LBB11_12
; %bb.11:                               ;   in Loop: Header=BB11_4 Depth=1
	v_cvt_f32_u32_e32 v3, s8
	s_sub_i32 s2, 0, s8
	v_rcp_iflag_f32_e32 v3, v3
	v_mul_f32_e32 v3, 0x4f7ffffe, v3
	v_cvt_u32_f32_e32 v3, v3
	v_mul_lo_u32 v4, s2, v3
	v_mul_hi_u32 v4, v3, v4
	v_add_u32_e32 v3, v3, v4
	v_mul_hi_u32 v3, v6, v3
	v_mul_lo_u32 v4, v3, s8
	v_add_u32_e32 v5, 1, v3
	v_sub_u32_e32 v4, v6, v4
	v_subrev_u32_e32 v8, s8, v4
	v_cmp_le_u32_e32 vcc, s8, v4
	v_cndmask_b32_e32 v4, v4, v8, vcc
	v_cndmask_b32_e32 v3, v3, v5, vcc
	v_add_u32_e32 v5, 1, v3
	v_cmp_le_u32_e32 vcc, s8, v4
	v_cndmask_b32_e32 v4, v3, v5, vcc
	v_mov_b32_e32 v5, v2
.LBB11_12:                              ;   in Loop: Header=BB11_4 Depth=1
	s_or_b64 exec, exec, s[0:1]
	v_mul_lo_u32 v3, v5, s8
	v_mul_lo_u32 v10, v4, s44
	v_mad_u64_u32 v[8:9], s[0:1], v4, s8, 0
	v_add3_u32 v3, v9, v10, v3
	v_sub_co_u32_e32 v8, vcc, v6, v8
	v_subb_co_u32_e32 v3, vcc, v7, v3, vcc
	v_mul_lo_u32 v3, v3, s46
	v_mul_lo_u32 v9, v8, s45
	v_mad_u64_u32 v[10:11], s[0:1], v8, s46, 0
	v_add3_u32 v11, v11, v9, v3
	v_mov_b32_e32 v3, s47
	v_subrev_co_u32_e32 v8, vcc, s48, v10
	v_subb_co_u32_e32 v9, vcc, v11, v3, vcc
	v_cmp_lt_i64_e32 vcc, 0, v[8:9]
	v_cndmask_b32_e32 v13, 0, v8, vcc
	v_cndmask_b32_e32 v12, 0, v9, vcc
	v_add_co_u32_e32 v13, vcc, s48, v13
	v_addc_co_u32_e32 v14, vcc, v12, v3, vcc
	v_cmp_ne_u64_e32 vcc, v[13:14], v[10:11]
	v_cndmask_b32_e64 v12, 0, 1, vcc
	v_add_co_u32_e32 v3, vcc, v10, v12
	v_addc_co_u32_e32 v10, vcc, 0, v11, vcc
	v_sub_co_u32_e32 v13, vcc, v13, v3
	v_subb_co_u32_e32 v14, vcc, v14, v10, vcc
	v_or_b32_e32 v3, s56, v14
	v_cmp_ne_u64_e32 vcc, 0, v[2:3]
                                        ; implicit-def: $vgpr10_vgpr11
	s_and_saveexec_b64 s[0:1], vcc
	s_xor_b64 s[2:3], exec, s[0:1]
	s_cbranch_execz .LBB11_14
; %bb.13:                               ;   in Loop: Header=BB11_4 Depth=1
	v_cvt_f32_u32_e32 v3, s57
	v_cvt_f32_u32_e32 v10, s56
	s_sub_u32 s4, 0, s57
	s_subb_u32 s5, 0, s56
	v_mac_f32_e32 v3, 0x4f800000, v10
	v_rcp_f32_e32 v3, v3
	v_mul_f32_e32 v3, 0x5f7ffffc, v3
	v_mul_f32_e32 v10, 0x2f800000, v3
	v_trunc_f32_e32 v10, v10
	v_mac_f32_e32 v3, 0xcf800000, v10
	v_cvt_u32_f32_e32 v10, v10
	v_cvt_u32_f32_e32 v3, v3
	v_readfirstlane_b32 s21, v10
	v_readfirstlane_b32 s0, v3
	s_mul_i32 s1, s4, s21
	s_mul_hi_u32 s36, s4, s0
	s_mul_i32 s35, s5, s0
	s_add_i32 s1, s36, s1
	s_mul_i32 s37, s4, s0
	s_add_i32 s1, s1, s35
	s_mul_i32 s36, s0, s1
	s_mul_hi_u32 s38, s0, s37
	s_mul_hi_u32 s35, s0, s1
	s_add_u32 s36, s38, s36
	s_addc_u32 s35, 0, s35
	s_mul_hi_u32 s39, s21, s37
	s_mul_i32 s37, s21, s37
	s_add_u32 s36, s36, s37
	s_mul_hi_u32 s38, s21, s1
	s_addc_u32 s35, s35, s39
	s_addc_u32 s36, s38, 0
	s_mul_i32 s1, s21, s1
	s_add_u32 s1, s35, s1
	s_addc_u32 s35, 0, s36
	s_add_u32 s36, s0, s1
	s_cselect_b64 s[0:1], -1, 0
	s_cmp_lg_u64 s[0:1], 0
	s_addc_u32 s21, s21, s35
	s_mul_i32 s0, s4, s21
	s_mul_hi_u32 s1, s4, s36
	s_add_i32 s0, s1, s0
	s_mul_i32 s5, s5, s36
	s_add_i32 s0, s0, s5
	s_mul_i32 s4, s4, s36
	s_mul_hi_u32 s5, s21, s4
	s_mul_i32 s35, s21, s4
	s_mul_i32 s38, s36, s0
	s_mul_hi_u32 s4, s36, s4
	s_mul_hi_u32 s37, s36, s0
	s_add_u32 s4, s4, s38
	s_addc_u32 s37, 0, s37
	s_add_u32 s4, s4, s35
	s_mul_hi_u32 s1, s21, s0
	s_addc_u32 s4, s37, s5
	s_addc_u32 s1, s1, 0
	s_mul_i32 s0, s21, s0
	s_add_u32 s0, s4, s0
	s_addc_u32 s4, 0, s1
	s_add_u32 s5, s36, s0
	s_cselect_b64 s[0:1], -1, 0
	s_cmp_lg_u64 s[0:1], 0
	s_addc_u32 s4, s21, s4
	v_mad_u64_u32 v[10:11], s[0:1], v13, s4, 0
	v_mul_hi_u32 v3, v13, s5
	v_mad_u64_u32 v[15:16], s[0:1], v14, s4, 0
	v_add_co_u32_e32 v3, vcc, v3, v10
	v_addc_co_u32_e32 v17, vcc, 0, v11, vcc
	v_mad_u64_u32 v[10:11], s[0:1], v14, s5, 0
	v_add_co_u32_e32 v3, vcc, v3, v10
	v_addc_co_u32_e32 v3, vcc, v17, v11, vcc
	v_addc_co_u32_e32 v10, vcc, 0, v16, vcc
	v_add_co_u32_e32 v3, vcc, v3, v15
	v_addc_co_u32_e32 v15, vcc, 0, v10, vcc
	v_mul_lo_u32 v16, s56, v3
	v_mul_lo_u32 v17, s57, v15
	v_mad_u64_u32 v[10:11], s[0:1], s57, v3, 0
	v_add3_u32 v11, v11, v17, v16
	v_sub_u32_e32 v16, v14, v11
	v_mov_b32_e32 v17, s56
	v_sub_co_u32_e32 v10, vcc, v13, v10
	v_subb_co_u32_e64 v13, s[0:1], v16, v17, vcc
	v_subrev_co_u32_e64 v16, s[0:1], s57, v10
	v_subbrev_co_u32_e64 v13, s[0:1], 0, v13, s[0:1]
	v_cmp_le_u32_e64 s[0:1], s56, v13
	v_cndmask_b32_e64 v17, 0, -1, s[0:1]
	v_cmp_le_u32_e64 s[0:1], s57, v16
	v_cndmask_b32_e64 v16, 0, -1, s[0:1]
	v_cmp_eq_u32_e64 s[0:1], s56, v13
	v_cndmask_b32_e64 v13, v17, v16, s[0:1]
	v_add_co_u32_e64 v16, s[0:1], 2, v3
	v_subb_co_u32_e32 v11, vcc, v14, v11, vcc
	v_addc_co_u32_e64 v17, s[0:1], 0, v15, s[0:1]
	v_cmp_le_u32_e32 vcc, s56, v11
	v_add_co_u32_e64 v18, s[0:1], 1, v3
	v_cndmask_b32_e64 v14, 0, -1, vcc
	v_cmp_le_u32_e32 vcc, s57, v10
	v_addc_co_u32_e64 v19, s[0:1], 0, v15, s[0:1]
	v_cndmask_b32_e64 v10, 0, -1, vcc
	v_cmp_eq_u32_e32 vcc, s56, v11
	v_cmp_ne_u32_e64 s[0:1], 0, v13
	v_cndmask_b32_e32 v10, v14, v10, vcc
	v_cndmask_b32_e64 v13, v19, v17, s[0:1]
	v_cmp_ne_u32_e32 vcc, 0, v10
	v_cndmask_b32_e64 v10, v18, v16, s[0:1]
	v_cndmask_b32_e32 v11, v15, v13, vcc
	v_cndmask_b32_e32 v10, v3, v10, vcc
                                        ; implicit-def: $vgpr13
.LBB11_14:                              ;   in Loop: Header=BB11_4 Depth=1
	s_andn2_saveexec_b64 s[0:1], s[2:3]
	s_cbranch_execz .LBB11_16
; %bb.15:                               ;   in Loop: Header=BB11_4 Depth=1
	v_cvt_f32_u32_e32 v3, s57
	s_sub_i32 s2, 0, s57
	v_rcp_iflag_f32_e32 v3, v3
	v_mul_f32_e32 v3, 0x4f7ffffe, v3
	v_cvt_u32_f32_e32 v3, v3
	v_mul_lo_u32 v10, s2, v3
	v_mul_hi_u32 v10, v3, v10
	v_add_u32_e32 v3, v3, v10
	v_mul_hi_u32 v3, v13, v3
	v_mul_lo_u32 v10, v3, s57
	v_add_u32_e32 v11, 1, v3
	v_sub_u32_e32 v10, v13, v10
	v_subrev_u32_e32 v13, s57, v10
	v_cmp_le_u32_e32 vcc, s57, v10
	v_cndmask_b32_e32 v10, v10, v13, vcc
	v_cndmask_b32_e32 v3, v3, v11, vcc
	v_add_u32_e32 v11, 1, v3
	v_cmp_le_u32_e32 vcc, s57, v10
	v_cndmask_b32_e32 v10, v3, v11, vcc
	v_mov_b32_e32 v11, v2
.LBB11_16:                              ;   in Loop: Header=BB11_4 Depth=1
	s_or_b64 exec, exec, s[0:1]
	v_mul_lo_u32 v3, v7, s9
	v_mul_lo_u32 v13, v6, s33
	v_mad_u64_u32 v[6:7], s[0:1], v6, s9, 0
	v_add3_u32 v3, v7, v13, v3
	v_sub_co_u32_e32 v6, vcc, v0, v6
	v_subb_co_u32_e32 v3, vcc, v1, v3, vcc
	v_mul_lo_u32 v3, v3, s50
	v_mul_lo_u32 v7, v6, s49
	v_mad_u64_u32 v[13:14], s[0:1], v6, s50, 0
	v_add3_u32 v14, v14, v7, v3
	v_mov_b32_e32 v3, s51
	v_subrev_co_u32_e32 v6, vcc, s52, v13
	v_subb_co_u32_e32 v7, vcc, v14, v3, vcc
	v_cmp_lt_i64_e32 vcc, 0, v[6:7]
	v_cndmask_b32_e32 v16, 0, v6, vcc
	v_cndmask_b32_e32 v15, 0, v7, vcc
	v_add_co_u32_e32 v16, vcc, s52, v16
	v_addc_co_u32_e32 v17, vcc, v15, v3, vcc
	v_cmp_ne_u64_e32 vcc, v[16:17], v[13:14]
	v_cndmask_b32_e64 v15, 0, 1, vcc
	v_add_co_u32_e32 v3, vcc, v13, v15
	v_addc_co_u32_e32 v13, vcc, 0, v14, vcc
	v_sub_co_u32_e32 v16, vcc, v16, v3
	v_subb_co_u32_e32 v17, vcc, v17, v13, vcc
	v_or_b32_e32 v3, s58, v17
	v_cmp_ne_u64_e32 vcc, 0, v[2:3]
                                        ; implicit-def: $vgpr13_vgpr14
	s_and_saveexec_b64 s[0:1], vcc
	s_xor_b64 s[2:3], exec, s[0:1]
	s_cbranch_execz .LBB11_18
; %bb.17:                               ;   in Loop: Header=BB11_4 Depth=1
	v_cvt_f32_u32_e32 v3, s59
	v_cvt_f32_u32_e32 v13, s58
	s_sub_u32 s4, 0, s59
	s_subb_u32 s5, 0, s58
	v_mac_f32_e32 v3, 0x4f800000, v13
	v_rcp_f32_e32 v3, v3
	v_mul_f32_e32 v3, 0x5f7ffffc, v3
	v_mul_f32_e32 v13, 0x2f800000, v3
	v_trunc_f32_e32 v13, v13
	v_mac_f32_e32 v3, 0xcf800000, v13
	v_cvt_u32_f32_e32 v13, v13
	v_cvt_u32_f32_e32 v3, v3
	v_readfirstlane_b32 s21, v13
	v_readfirstlane_b32 s0, v3
	s_mul_i32 s1, s4, s21
	s_mul_hi_u32 s36, s4, s0
	s_mul_i32 s35, s5, s0
	s_add_i32 s1, s36, s1
	s_mul_i32 s37, s4, s0
	s_add_i32 s1, s1, s35
	s_mul_i32 s36, s0, s1
	s_mul_hi_u32 s38, s0, s37
	s_mul_hi_u32 s35, s0, s1
	s_add_u32 s36, s38, s36
	s_addc_u32 s35, 0, s35
	s_mul_hi_u32 s39, s21, s37
	s_mul_i32 s37, s21, s37
	s_add_u32 s36, s36, s37
	s_mul_hi_u32 s38, s21, s1
	s_addc_u32 s35, s35, s39
	s_addc_u32 s36, s38, 0
	s_mul_i32 s1, s21, s1
	s_add_u32 s1, s35, s1
	s_addc_u32 s35, 0, s36
	s_add_u32 s36, s0, s1
	s_cselect_b64 s[0:1], -1, 0
	s_cmp_lg_u64 s[0:1], 0
	s_addc_u32 s21, s21, s35
	s_mul_i32 s0, s4, s21
	s_mul_hi_u32 s1, s4, s36
	s_add_i32 s0, s1, s0
	s_mul_i32 s5, s5, s36
	s_add_i32 s0, s0, s5
	s_mul_i32 s4, s4, s36
	s_mul_hi_u32 s5, s21, s4
	s_mul_i32 s35, s21, s4
	s_mul_i32 s38, s36, s0
	s_mul_hi_u32 s4, s36, s4
	s_mul_hi_u32 s37, s36, s0
	s_add_u32 s4, s4, s38
	s_addc_u32 s37, 0, s37
	s_add_u32 s4, s4, s35
	s_mul_hi_u32 s1, s21, s0
	s_addc_u32 s4, s37, s5
	s_addc_u32 s1, s1, 0
	s_mul_i32 s0, s21, s0
	s_add_u32 s0, s4, s0
	s_addc_u32 s4, 0, s1
	s_add_u32 s5, s36, s0
	s_cselect_b64 s[0:1], -1, 0
	s_cmp_lg_u64 s[0:1], 0
	s_addc_u32 s4, s21, s4
	v_mad_u64_u32 v[13:14], s[0:1], v16, s4, 0
	v_mul_hi_u32 v3, v16, s5
	v_mad_u64_u32 v[18:19], s[0:1], v17, s4, 0
	v_add_co_u32_e32 v3, vcc, v3, v13
	v_addc_co_u32_e32 v20, vcc, 0, v14, vcc
	v_mad_u64_u32 v[13:14], s[0:1], v17, s5, 0
	v_add_co_u32_e32 v3, vcc, v3, v13
	v_addc_co_u32_e32 v3, vcc, v20, v14, vcc
	v_addc_co_u32_e32 v13, vcc, 0, v19, vcc
	v_add_co_u32_e32 v3, vcc, v3, v18
	v_addc_co_u32_e32 v18, vcc, 0, v13, vcc
	v_mul_lo_u32 v19, s58, v3
	v_mul_lo_u32 v20, s59, v18
	v_mad_u64_u32 v[13:14], s[0:1], s59, v3, 0
	v_add3_u32 v14, v14, v20, v19
	v_sub_u32_e32 v19, v17, v14
	v_mov_b32_e32 v20, s58
	v_sub_co_u32_e32 v13, vcc, v16, v13
	v_subb_co_u32_e64 v16, s[0:1], v19, v20, vcc
	v_subrev_co_u32_e64 v19, s[0:1], s59, v13
	v_subbrev_co_u32_e64 v16, s[0:1], 0, v16, s[0:1]
	v_cmp_le_u32_e64 s[0:1], s58, v16
	v_cndmask_b32_e64 v20, 0, -1, s[0:1]
	v_cmp_le_u32_e64 s[0:1], s59, v19
	v_cndmask_b32_e64 v19, 0, -1, s[0:1]
	v_cmp_eq_u32_e64 s[0:1], s58, v16
	v_cndmask_b32_e64 v16, v20, v19, s[0:1]
	v_add_co_u32_e64 v19, s[0:1], 2, v3
	v_subb_co_u32_e32 v14, vcc, v17, v14, vcc
	v_addc_co_u32_e64 v20, s[0:1], 0, v18, s[0:1]
	v_cmp_le_u32_e32 vcc, s58, v14
	v_add_co_u32_e64 v21, s[0:1], 1, v3
	v_cndmask_b32_e64 v17, 0, -1, vcc
	v_cmp_le_u32_e32 vcc, s59, v13
	v_addc_co_u32_e64 v22, s[0:1], 0, v18, s[0:1]
	v_cndmask_b32_e64 v13, 0, -1, vcc
	v_cmp_eq_u32_e32 vcc, s58, v14
	v_cmp_ne_u32_e64 s[0:1], 0, v16
	v_cndmask_b32_e32 v13, v17, v13, vcc
	v_cndmask_b32_e64 v16, v22, v20, s[0:1]
	v_cmp_ne_u32_e32 vcc, 0, v13
	v_cndmask_b32_e64 v13, v21, v19, s[0:1]
	v_cndmask_b32_e32 v14, v18, v16, vcc
	v_cndmask_b32_e32 v13, v3, v13, vcc
                                        ; implicit-def: $vgpr16
.LBB11_18:                              ;   in Loop: Header=BB11_4 Depth=1
	s_andn2_saveexec_b64 s[0:1], s[2:3]
	s_cbranch_execz .LBB11_20
; %bb.19:                               ;   in Loop: Header=BB11_4 Depth=1
	v_cvt_f32_u32_e32 v3, s59
	s_sub_i32 s2, 0, s59
	v_rcp_iflag_f32_e32 v3, v3
	v_mul_f32_e32 v3, 0x4f7ffffe, v3
	v_cvt_u32_f32_e32 v3, v3
	v_mul_lo_u32 v13, s2, v3
	v_mul_hi_u32 v13, v3, v13
	v_add_u32_e32 v3, v3, v13
	v_mul_hi_u32 v3, v16, v3
	v_mul_lo_u32 v13, v3, s59
	v_add_u32_e32 v14, 1, v3
	v_sub_u32_e32 v13, v16, v13
	v_subrev_u32_e32 v16, s59, v13
	v_cmp_le_u32_e32 vcc, s59, v13
	v_cndmask_b32_e32 v13, v13, v16, vcc
	v_cndmask_b32_e32 v3, v3, v14, vcc
	v_add_u32_e32 v14, 1, v3
	v_cmp_le_u32_e32 vcc, s59, v13
	v_cndmask_b32_e32 v13, v3, v14, vcc
	v_mov_b32_e32 v14, v2
.LBB11_20:                              ;   in Loop: Header=BB11_4 Depth=1
	s_or_b64 exec, exec, s[0:1]
	v_add_co_u32_e32 v3, vcc, v10, v12
	v_addc_co_u32_e32 v10, vcc, 0, v11, vcc
	v_mul_lo_u32 v16, v3, s11
	v_mad_u64_u32 v[11:12], s[0:1], v3, s10, v[8:9]
	v_add_co_u32_e32 v3, vcc, v13, v15
	v_addc_co_u32_e32 v9, vcc, 0, v14, vcc
	v_mul_lo_u32 v10, v10, s10
	v_mul_lo_u32 v15, v3, s13
	;; [unrolled: 1-line block ×3, first 2 shown]
	v_mad_u64_u32 v[13:14], s[0:1], v3, s12, v[6:7]
	v_add3_u32 v3, v10, v12, v16
	v_mul_lo_u32 v3, v3, s22
	v_add3_u32 v14, v9, v14, v15
	v_mad_u64_u32 v[9:10], s[0:1], v11, s22, v[13:14]
	v_mul_lo_u32 v7, v11, s23
	v_add_u32_e32 v8, s53, v8
	v_min_i32_e32 v8, s20, v8
	v_cmp_gt_i32_e32 vcc, v8, v11
	v_add3_u32 v10, v3, v10, v7
	v_mov_b32_e32 v12, 0xfffffc00
	s_and_saveexec_b64 s[36:37], vcc
	s_cbranch_execz .LBB11_3
; %bb.21:                               ;   in Loop: Header=BB11_4 Depth=1
	v_add_u32_e32 v3, s54, v6
	v_mov_b32_e32 v6, s18
	v_mov_b32_e32 v7, s19
	v_mad_u64_u32 v[6:7], s[0:1], s14, v4, v[6:7]
	v_mul_lo_u32 v12, s14, v5
	v_mul_lo_u32 v4, s15, v4
	v_min_i32_e32 v5, s22, v3
	v_ashrrev_i32_e32 v3, 31, v11
	v_cmp_gt_i32_e32 vcc, v5, v13
	v_add3_u32 v7, v4, v7, v12
	v_mov_b32_e32 v12, 0xfffffc00
	s_mov_b64 s[38:39], 0
	s_branch .LBB11_23
.LBB11_22:                              ;   in Loop: Header=BB11_23 Depth=2
	s_or_b64 exec, exec, s[40:41]
	v_add_u32_e32 v11, s6, v11
	v_cmp_ge_i32_e64 s[0:1], v11, v8
	s_or_b64 s[38:39], s[0:1], s[38:39]
	v_ashrrev_i32_e32 v3, 31, v11
	s_andn2_b64 exec, exec, s[38:39]
	s_cbranch_execz .LBB11_2
.LBB11_23:                              ;   Parent Loop BB11_4 Depth=1
                                        ; =>  This Loop Header: Depth=2
                                        ;       Child Loop BB11_25 Depth 3
	s_and_saveexec_b64 s[40:41], vcc
	s_cbranch_execz .LBB11_22
; %bb.24:                               ;   in Loop: Header=BB11_23 Depth=2
	v_ashrrev_i32_e32 v14, 31, v13
	v_mul_lo_u32 v15, v11, s23
	v_mul_lo_u32 v16, v3, s22
	v_mad_u64_u32 v[3:4], s[0:1], v11, s22, v[13:14]
	s_mov_b64 s[42:43], 0
	v_add3_u32 v4, v16, v4, v15
	v_lshlrev_b64 v[14:15], 1, v[3:4]
	v_mov_b32_e32 v16, v13
	v_add_co_u32_e64 v14, s[0:1], v6, v14
	v_addc_co_u32_e64 v15, s[0:1], v7, v15, s[0:1]
.LBB11_25:                              ;   Parent Loop BB11_4 Depth=1
                                        ;     Parent Loop BB11_23 Depth=2
                                        ; =>    This Inner Loop Header: Depth=3
	global_load_ushort v17, v[14:15], off
	v_mov_b32_e32 v19, s29
	v_add_co_u32_e64 v14, s[0:1], s28, v14
	v_add_u32_e32 v16, s7, v16
	v_addc_co_u32_e64 v15, s[0:1], v15, v19, s[0:1]
	v_cmp_ge_i32_e64 s[0:1], v16, v5
	v_mov_b32_e32 v18, s13
	s_waitcnt vmcnt(0)
	v_cmp_gt_f16_e64 s[2:3], v17, v12
	v_cmp_u_f16_e64 s[4:5], v17, v17
	s_or_b64 s[2:3], s[2:3], s[4:5]
	v_cndmask_b32_e64 v9, v9, v3, s[2:3]
	s_or_b64 s[42:43], s[0:1], s[42:43]
	v_add_co_u32_e64 v3, s[0:1], s12, v3
	v_cndmask_b32_e64 v12, v12, v17, s[2:3]
	v_cndmask_b32_e64 v10, v10, v4, s[2:3]
	v_addc_co_u32_e64 v4, s[0:1], v4, v18, s[0:1]
	s_andn2_b64 exec, exec, s[42:43]
	s_cbranch_execnz .LBB11_25
; %bb.26:                               ;   in Loop: Header=BB11_23 Depth=2
	s_or_b64 exec, exec, s[42:43]
	s_branch .LBB11_22
.LBB11_27:
	s_endpgm
	.section	.rodata,"a",@progbits
	.p2align	6, 0x0
	.amdhsa_kernel _ZN2at6native12_GLOBAL__N_121max_pool_forward_nchwIN3c104HalfElEEvT0_PKT_llliiiiiiiiiiPS6_Pl
		.amdhsa_group_segment_fixed_size 0
		.amdhsa_private_segment_fixed_size 0
		.amdhsa_kernarg_size 352
		.amdhsa_user_sgpr_count 6
		.amdhsa_user_sgpr_private_segment_buffer 1
		.amdhsa_user_sgpr_dispatch_ptr 0
		.amdhsa_user_sgpr_queue_ptr 0
		.amdhsa_user_sgpr_kernarg_segment_ptr 1
		.amdhsa_user_sgpr_dispatch_id 0
		.amdhsa_user_sgpr_flat_scratch_init 0
		.amdhsa_user_sgpr_private_segment_size 0
		.amdhsa_uses_dynamic_stack 0
		.amdhsa_system_sgpr_private_segment_wavefront_offset 0
		.amdhsa_system_sgpr_workgroup_id_x 1
		.amdhsa_system_sgpr_workgroup_id_y 0
		.amdhsa_system_sgpr_workgroup_id_z 0
		.amdhsa_system_sgpr_workgroup_info 0
		.amdhsa_system_vgpr_workitem_id 0
		.amdhsa_next_free_vgpr 23
		.amdhsa_next_free_sgpr 60
		.amdhsa_reserve_vcc 1
		.amdhsa_reserve_flat_scratch 0
		.amdhsa_float_round_mode_32 0
		.amdhsa_float_round_mode_16_64 0
		.amdhsa_float_denorm_mode_32 3
		.amdhsa_float_denorm_mode_16_64 3
		.amdhsa_dx10_clamp 1
		.amdhsa_ieee_mode 1
		.amdhsa_fp16_overflow 0
		.amdhsa_exception_fp_ieee_invalid_op 0
		.amdhsa_exception_fp_denorm_src 0
		.amdhsa_exception_fp_ieee_div_zero 0
		.amdhsa_exception_fp_ieee_overflow 0
		.amdhsa_exception_fp_ieee_underflow 0
		.amdhsa_exception_fp_ieee_inexact 0
		.amdhsa_exception_int_div_zero 0
	.end_amdhsa_kernel
	.section	.text._ZN2at6native12_GLOBAL__N_121max_pool_forward_nchwIN3c104HalfElEEvT0_PKT_llliiiiiiiiiiPS6_Pl,"axG",@progbits,_ZN2at6native12_GLOBAL__N_121max_pool_forward_nchwIN3c104HalfElEEvT0_PKT_llliiiiiiiiiiPS6_Pl,comdat
.Lfunc_end11:
	.size	_ZN2at6native12_GLOBAL__N_121max_pool_forward_nchwIN3c104HalfElEEvT0_PKT_llliiiiiiiiiiPS6_Pl, .Lfunc_end11-_ZN2at6native12_GLOBAL__N_121max_pool_forward_nchwIN3c104HalfElEEvT0_PKT_llliiiiiiiiiiPS6_Pl
                                        ; -- End function
	.set _ZN2at6native12_GLOBAL__N_121max_pool_forward_nchwIN3c104HalfElEEvT0_PKT_llliiiiiiiiiiPS6_Pl.num_vgpr, 23
	.set _ZN2at6native12_GLOBAL__N_121max_pool_forward_nchwIN3c104HalfElEEvT0_PKT_llliiiiiiiiiiPS6_Pl.num_agpr, 0
	.set _ZN2at6native12_GLOBAL__N_121max_pool_forward_nchwIN3c104HalfElEEvT0_PKT_llliiiiiiiiiiPS6_Pl.numbered_sgpr, 60
	.set _ZN2at6native12_GLOBAL__N_121max_pool_forward_nchwIN3c104HalfElEEvT0_PKT_llliiiiiiiiiiPS6_Pl.num_named_barrier, 0
	.set _ZN2at6native12_GLOBAL__N_121max_pool_forward_nchwIN3c104HalfElEEvT0_PKT_llliiiiiiiiiiPS6_Pl.private_seg_size, 0
	.set _ZN2at6native12_GLOBAL__N_121max_pool_forward_nchwIN3c104HalfElEEvT0_PKT_llliiiiiiiiiiPS6_Pl.uses_vcc, 1
	.set _ZN2at6native12_GLOBAL__N_121max_pool_forward_nchwIN3c104HalfElEEvT0_PKT_llliiiiiiiiiiPS6_Pl.uses_flat_scratch, 0
	.set _ZN2at6native12_GLOBAL__N_121max_pool_forward_nchwIN3c104HalfElEEvT0_PKT_llliiiiiiiiiiPS6_Pl.has_dyn_sized_stack, 0
	.set _ZN2at6native12_GLOBAL__N_121max_pool_forward_nchwIN3c104HalfElEEvT0_PKT_llliiiiiiiiiiPS6_Pl.has_recursion, 0
	.set _ZN2at6native12_GLOBAL__N_121max_pool_forward_nchwIN3c104HalfElEEvT0_PKT_llliiiiiiiiiiPS6_Pl.has_indirect_call, 0
	.section	.AMDGPU.csdata,"",@progbits
; Kernel info:
; codeLenInByte = 3916
; TotalNumSgprs: 64
; NumVgprs: 23
; ScratchSize: 0
; MemoryBound: 0
; FloatMode: 240
; IeeeMode: 1
; LDSByteSize: 0 bytes/workgroup (compile time only)
; SGPRBlocks: 7
; VGPRBlocks: 5
; NumSGPRsForWavesPerEU: 64
; NumVGPRsForWavesPerEU: 23
; Occupancy: 10
; WaveLimiterHint : 0
; COMPUTE_PGM_RSRC2:SCRATCH_EN: 0
; COMPUTE_PGM_RSRC2:USER_SGPR: 6
; COMPUTE_PGM_RSRC2:TRAP_HANDLER: 0
; COMPUTE_PGM_RSRC2:TGID_X_EN: 1
; COMPUTE_PGM_RSRC2:TGID_Y_EN: 0
; COMPUTE_PGM_RSRC2:TGID_Z_EN: 0
; COMPUTE_PGM_RSRC2:TIDIG_COMP_CNT: 0
	.section	.text._ZN2at6native12_GLOBAL__N_121max_pool_forward_nhwcIN3c108BFloat16EiEEvPKT_iT0_S8_S8_S8_S8_iiiiiiiiS8_S8_S8_S8_iiPS5_Pl,"axG",@progbits,_ZN2at6native12_GLOBAL__N_121max_pool_forward_nhwcIN3c108BFloat16EiEEvPKT_iT0_S8_S8_S8_S8_iiiiiiiiS8_S8_S8_S8_iiPS5_Pl,comdat
	.globl	_ZN2at6native12_GLOBAL__N_121max_pool_forward_nhwcIN3c108BFloat16EiEEvPKT_iT0_S8_S8_S8_S8_iiiiiiiiS8_S8_S8_S8_iiPS5_Pl ; -- Begin function _ZN2at6native12_GLOBAL__N_121max_pool_forward_nhwcIN3c108BFloat16EiEEvPKT_iT0_S8_S8_S8_S8_iiiiiiiiS8_S8_S8_S8_iiPS5_Pl
	.p2align	8
	.type	_ZN2at6native12_GLOBAL__N_121max_pool_forward_nhwcIN3c108BFloat16EiEEvPKT_iT0_S8_S8_S8_S8_iiiiiiiiS8_S8_S8_S8_iiPS5_Pl,@function
_ZN2at6native12_GLOBAL__N_121max_pool_forward_nhwcIN3c108BFloat16EiEEvPKT_iT0_S8_S8_S8_S8_iiiiiiiiS8_S8_S8_S8_iiPS5_Pl: ; @_ZN2at6native12_GLOBAL__N_121max_pool_forward_nhwcIN3c108BFloat16EiEEvPKT_iT0_S8_S8_S8_S8_iiiiiiiiS8_S8_S8_S8_iiPS5_Pl
; %bb.0:
	s_load_dwordx4 s[0:3], s[4:5], 0x6c
	s_load_dwordx4 s[28:31], s[4:5], 0x48
	s_waitcnt lgkmcnt(0)
	s_lshr_b32 s54, s2, 16
	s_and_b32 s36, s2, 0xffff
	v_mad_u32_u24 v6, v2, s54, v1
	s_and_b32 s33, s3, 0xffff
	v_mad_u64_u32 v[3:4], s[2:3], v6, s36, v[0:1]
	s_mul_i32 s9, s31, s36
	s_mul_i32 s34, s9, s54
	;; [unrolled: 1-line block ×3, first 2 shown]
	v_cmp_gt_u32_e32 vcc, s34, v3
	s_and_saveexec_b64 s[2:3], vcc
	s_cbranch_execz .LBB12_3
; %bb.1:
	s_mul_i32 s12, s54, s36
	s_lshl_b32 s10, s34, 2
	s_mul_i32 s12, s12, s33
	s_add_i32 s10, s10, 0
	v_lshl_add_u32 v4, v3, 1, s10
	s_lshl_b32 s13, s12, 1
	v_lshl_add_u32 v5, v3, 2, 0
	s_lshl_b32 s14, s12, 2
	s_mov_b64 s[10:11], 0
	v_mov_b32_e32 v7, 0xffffff80
	v_mov_b32_e32 v8, 0
.LBB12_2:                               ; =>This Inner Loop Header: Depth=1
	v_add_u32_e32 v3, s12, v3
	v_cmp_le_u32_e32 vcc, s34, v3
	ds_write_b16 v4, v7
	ds_write_b32 v5, v8
	v_add_u32_e32 v4, s13, v4
	s_or_b64 s[10:11], vcc, s[10:11]
	v_add_u32_e32 v5, s14, v5
	s_andn2_b64 exec, exec, s[10:11]
	s_cbranch_execnz .LBB12_2
.LBB12_3:
	s_or_b64 exec, exec, s[2:3]
	v_cvt_f32_u32_e32 v3, s1
	s_load_dwordx16 s[12:27], s[4:5], 0x8
	s_sub_i32 s2, 0, s1
	s_waitcnt lgkmcnt(0)
	v_rcp_iflag_f32_e32 v3, v3
	s_barrier
	s_add_i32 s3, s16, s1
	s_add_i32 s3, s3, -1
	v_mul_f32_e32 v3, 0x4f7ffffe, v3
	v_cvt_u32_f32_e32 v3, v3
	v_cvt_f32_u32_e32 v4, s12
	v_readfirstlane_b32 s10, v3
	s_mul_i32 s2, s2, s10
	s_mul_hi_u32 s11, s10, s2
	s_add_i32 s10, s10, s11
	s_mul_hi_u32 s10, s3, s10
	v_cvt_f32_u32_e32 v3, s0
	s_mul_i32 s11, s10, s1
	s_sub_i32 s3, s3, s11
	s_add_i32 s11, s10, 1
	s_sub_i32 s35, s3, s1
	v_rcp_iflag_f32_e32 v4, v4
	v_rcp_iflag_f32_e32 v3, v3
	s_cmp_ge_u32 s3, s1
	s_cselect_b32 s10, s11, s10
	s_cselect_b32 s3, s35, s3
	s_add_i32 s11, s10, 1
	s_cmp_ge_u32 s3, s1
	v_mul_f32_e32 v4, 0x4f7ffffe, v4
	v_mul_f32_e32 v3, 0x4f7ffffe, v3
	s_cselect_b32 s3, s11, s10
	v_cvt_u32_f32_e32 v4, v4
	v_cvt_u32_f32_e32 v3, v3
	s_mul_i32 s8, s3, s8
	v_add_u32_e32 v14, s8, v2
	v_add_u32_e32 v2, s3, v14
	v_min_i32_e32 v15, s16, v2
	v_readfirstlane_b32 s2, v4
	v_readfirstlane_b32 s1, v3
	v_cmp_lt_i32_e32 vcc, v14, v15
	s_and_saveexec_b64 s[10:11], vcc
	s_cbranch_execz .LBB12_74
; %bb.4:
	s_sub_i32 s3, 0, s12
	s_mul_i32 s3, s3, s2
	s_mul_hi_u32 s3, s2, s3
	s_add_i32 s2, s2, s3
	s_add_i32 s3, s17, s0
	s_add_i32 s37, s3, -1
	s_sub_i32 s3, 0, s0
	s_mul_i32 s3, s3, s1
	s_mul_hi_u32 s3, s1, s3
	s_mul_hi_u32 s2, s6, s2
	s_add_i32 s1, s1, s3
	s_lshl_b32 s3, s34, 2
	s_add_i32 s40, s3, 0
	s_mul_i32 s3, s2, s12
	s_sub_i32 s3, s6, s3
	s_add_i32 s8, s2, 1
	s_sub_i32 s10, s3, s12
	s_cmp_ge_u32 s3, s12
	s_cselect_b32 s2, s8, s2
	s_cselect_b32 s3, s10, s3
	s_add_i32 s8, s2, 1
	s_cmp_ge_u32 s3, s12
	s_cselect_b32 s2, s8, s2
	s_load_dwordx2 s[38:39], s[4:5], 0x0
	s_mul_i32 s3, s2, s12
	s_mul_i32 s2, s2, s36
	s_sub_i32 s6, s6, s3
	v_add_u32_e32 v2, s2, v0
	s_mul_i32 s2, s16, s13
	s_mul_i32 s2, s2, s17
	;; [unrolled: 1-line block ×4, first 2 shown]
	s_ashr_i32 s11, s10, 31
	s_mul_hi_u32 s1, s37, s1
	s_ashr_i32 s3, s2, 31
	s_lshl_b64 s[34:35], s[10:11], 1
	v_mul_lo_u32 v3, s9, v6
	s_load_dwordx4 s[8:11], s[4:5], 0x58
	s_waitcnt lgkmcnt(0)
	s_add_u32 s12, s38, s34
	s_mul_i32 s4, s1, s0
	s_addc_u32 s55, s39, s35
	s_sub_i32 s4, s37, s4
	s_add_i32 s5, s1, 1
	s_sub_i32 s6, s4, s0
	s_cmp_ge_u32 s4, s0
	s_cselect_b32 s1, s5, s1
	s_cselect_b32 s4, s6, s4
	s_add_i32 s5, s1, 1
	s_cmp_ge_u32 s4, s0
	s_cselect_b32 s6, s5, s1
	s_mul_i32 s0, s6, s7
	v_add_u32_e32 v1, s0, v1
	s_add_i32 s0, s18, -1
	s_mul_i32 s56, s24, s0
	s_add_i32 s0, s19, -1
	s_mul_i32 s57, s25, s0
	s_add_i32 s56, s56, 1
	s_add_i32 s57, s57, 1
	s_max_i32 s0, s18, s19
	s_cmp_lt_i32 s0, 4
	s_mul_i32 s18, s30, s36
	s_cselect_b64 s[0:1], -1, 0
	s_cmp_le_u32 s13, s18
	s_cselect_b64 s[4:5], -1, 0
	s_max_u32 s58, s24, 1
	v_mul_lo_u32 v4, v2, s27
	v_cvt_f32_u32_e32 v10, s58
	v_lshlrev_b32_e32 v9, 1, v3
	s_and_b64 s[34:35], s[0:1], s[4:5]
	v_ashrrev_i32_e32 v5, 31, v4
	v_rcp_iflag_f32_e32 v10, v10
	v_lshlrev_b64 v[7:8], 1, v[4:5]
	v_mov_b32_e32 v5, s55
	v_add_co_u32_e32 v16, vcc, s12, v7
	v_addc_co_u32_e32 v17, vcc, v5, v8, vcc
	v_mul_f32_e32 v5, 0x4f7ffffe, v10
	v_cvt_u32_f32_e32 v5, v5
	v_lshlrev_b32_e32 v7, 1, v0
	v_add3_u32 v18, s40, v9, v7
	v_lshlrev_b32_e32 v9, 1, v6
	v_mul_lo_u32 v6, s31, v6
	s_sub_i32 s0, 0, s58
	v_mul_lo_u32 v8, s0, v5
	s_mul_i32 s0, s54, s33
	v_lshlrev_b32_e32 v3, 2, v3
	v_lshl_add_u32 v9, s0, 2, v9
	v_lshlrev_b32_e32 v10, 2, v0
	v_mul_lo_u32 v9, s31, v9
	v_add3_u32 v0, 0, v3, v10
	v_mul_lo_u32 v3, v6, s36
	v_mul_hi_u32 v8, v5, v8
	v_mul_lo_u32 v9, v9, s36
	s_lshl_b32 s59, s25, 1
	v_lshlrev_b32_e32 v3, 2, v3
	s_lshl_b32 s60, s36, 1
	v_add3_u32 v21, v3, v10, 0
	s_lshl_b32 s61, s36, 2
	s_lshl_b64 s[0:1], s[2:3], 1
	v_ashrrev_i32_e32 v3, 31, v2
	v_add_u32_e32 v19, v5, v8
	v_lshlrev_b64 v[5:6], 1, v[2:3]
	s_add_u32 s0, s8, s0
	s_addc_u32 s1, s9, s1
	s_ashr_i32 s19, s18, 31
	v_add3_u32 v20, v9, v7, 0
	v_mov_b32_e32 v7, s1
	v_add_co_u32_e32 v22, vcc, s0, v5
	s_lshl_b64 s[30:31], s[18:19], 1
	s_lshl_b64 s[0:1], s[2:3], 3
	s_add_u32 s2, s10, s0
	s_addc_u32 s0, s11, s1
	v_addc_co_u32_e32 v23, vcc, v7, v6, vcc
	v_mov_b32_e32 v9, s0
	v_mad_u64_u32 v[7:8], s[0:1], s17, v14, v[1:2]
	v_lshlrev_b64 v[5:6], 3, v[2:3]
	s_mul_i32 s63, s17, s13
	v_mul_lo_u32 v25, s13, v7
	v_add_co_u32_e32 v3, vcc, s2, v5
	v_add_u32_e32 v5, s6, v1
	v_min_i32_e32 v26, s17, v5
	v_addc_co_u32_e32 v24, vcc, v9, v6, vcc
	v_cmp_lt_i32_e64 s[0:1], v1, v26
	v_cmp_gt_i32_e64 s[2:3], s13, v2
	s_mul_i32 s62, s18, s27
	s_mul_i32 s63, s63, s33
	;; [unrolled: 1-line block ×3, first 2 shown]
	s_lshl_b64 s[16:17], s[18:19], 3
	s_mov_b64 s[26:27], 0
	v_mov_b32_e32 v27, 0
	v_mov_b32_e32 v28, 0xffffff80
	s_branch .LBB12_6
.LBB12_5:                               ;   in Loop: Header=BB12_6 Depth=1
	s_or_b64 exec, exec, s[36:37]
	v_add_u32_e32 v14, s33, v14
	v_cmp_ge_i32_e32 vcc, v14, v15
	s_or_b64 s[26:27], vcc, s[26:27]
	v_add_u32_e32 v25, s63, v25
	s_andn2_b64 exec, exec, s[26:27]
	s_cbranch_execz .LBB12_74
.LBB12_6:                               ; =>This Loop Header: Depth=1
                                        ;     Child Loop BB12_9 Depth 2
                                        ;       Child Loop BB12_10 Depth 3
                                        ;       Child Loop BB12_63 Depth 3
                                        ;         Child Loop BB12_66 Depth 4
                                        ;           Child Loop BB12_69 Depth 5
                                        ;       Child Loop BB12_73 Depth 3
	s_and_saveexec_b64 s[36:37], s[0:1]
	s_cbranch_execz .LBB12_5
; %bb.7:                                ;   in Loop: Header=BB12_6 Depth=1
	v_mul_lo_u32 v6, v14, s20
	s_mov_b64 s[38:39], 0
	v_mov_b32_e32 v5, v25
	v_mov_b32_e32 v30, v1
	v_subrev_u32_e32 v7, s22, v6
	v_add_u32_e32 v6, s56, v7
	v_min_i32_e32 v29, s14, v6
	s_branch .LBB12_9
.LBB12_8:                               ;   in Loop: Header=BB12_9 Depth=2
	s_or_b64 exec, exec, s[4:5]
	v_add_u32_e32 v30, s54, v30
	v_cmp_ge_i32_e32 vcc, v30, v26
	s_or_b64 s[38:39], vcc, s[38:39]
	v_add_u32_e32 v5, s64, v5
	s_andn2_b64 exec, exec, s[38:39]
	s_cbranch_execz .LBB12_5
.LBB12_9:                               ;   Parent Loop BB12_6 Depth=1
                                        ; =>  This Loop Header: Depth=2
                                        ;       Child Loop BB12_10 Depth 3
                                        ;       Child Loop BB12_63 Depth 3
                                        ;         Child Loop BB12_66 Depth 4
                                        ;           Child Loop BB12_69 Depth 5
                                        ;       Child Loop BB12_73 Depth 3
	v_mul_lo_u32 v6, v30, s21
	s_mov_b64 s[4:5], 0
	s_waitcnt vmcnt(0)
	v_subrev_u32_e32 v8, s23, v6
	v_mov_b32_e32 v32, v8
.LBB12_10:                              ;   Parent Loop BB12_6 Depth=1
                                        ;     Parent Loop BB12_9 Depth=2
                                        ; =>    This Inner Loop Header: Depth=3
	v_mov_b32_e32 v6, v32
	v_cmp_lt_i32_e32 vcc, -1, v6
	s_or_b64 s[4:5], vcc, s[4:5]
	v_add_u32_e32 v32, s25, v6
	s_andn2_b64 exec, exec, s[4:5]
	s_cbranch_execnz .LBB12_10
; %bb.11:                               ;   in Loop: Header=BB12_9 Depth=2
	s_or_b64 exec, exec, s[4:5]
	v_lshrrev_b32_e32 v10, 31, v7
	v_max_i32_e32 v9, 0, v7
	v_add_u32_e32 v11, v7, v10
	v_sub_u32_e32 v9, v9, v11
	v_mul_hi_u32 v11, v9, v19
	v_add_u32_e32 v13, s57, v8
	v_min_i32_e32 v31, s15, v13
	v_mul_lo_u32 v12, v11, s58
	v_add_u32_e32 v8, 1, v11
	v_sub_u32_e32 v9, v9, v12
	v_cmp_le_u32_e32 vcc, s58, v9
	v_cndmask_b32_e32 v8, v11, v8, vcc
	v_subrev_u32_e32 v11, s58, v9
	v_cndmask_b32_e32 v9, v9, v11, vcc
	v_add_u32_e32 v11, 1, v8
	v_cmp_le_u32_e32 vcc, s58, v9
	v_cndmask_b32_e32 v8, v8, v11, vcc
	v_add_u32_e32 v8, v10, v8
	v_mad_u64_u32 v[7:8], s[4:5], s24, v8, v[7:8]
	s_mov_b64 s[4:5], -1
	s_and_b64 vcc, exec, s[34:35]
	v_cmp_lt_i32_e64 s[8:9], v7, v29
	s_cbranch_vccnz .LBB12_14
; %bb.12:                               ;   in Loop: Header=BB12_9 Depth=2
	s_and_b64 vcc, exec, s[4:5]
	s_cbranch_vccnz .LBB12_60
.LBB12_13:                              ;   in Loop: Header=BB12_9 Depth=2
	s_and_saveexec_b64 s[4:5], s[2:3]
	s_cbranch_execz .LBB12_8
	s_branch .LBB12_72
.LBB12_14:                              ;   in Loop: Header=BB12_9 Depth=2
	v_mul_lo_u32 v8, v7, s28
	v_cmp_lt_i32_e32 vcc, v6, v31
	v_mov_b32_e32 v34, 0
	v_mov_b32_e32 v38, 0
	v_ashrrev_i32_e32 v9, 31, v8
	v_lshlrev_b64 v[8:9], 1, v[8:9]
	v_add_co_u32_e64 v36, s[4:5], v16, v8
	v_mul_lo_u32 v8, v6, s29
	v_addc_co_u32_e64 v37, s[4:5], v17, v9, s[4:5]
	s_and_b64 s[4:5], s[8:9], vcc
	s_and_b64 s[40:41], s[2:3], s[4:5]
	v_ashrrev_i32_e32 v9, 31, v8
	s_and_saveexec_b64 s[6:7], s[40:41]
	s_cbranch_execz .LBB12_16
; %bb.15:                               ;   in Loop: Header=BB12_9 Depth=2
	v_lshlrev_b64 v[10:11], 1, v[8:9]
	v_add_co_u32_e64 v10, s[4:5], v36, v10
	v_addc_co_u32_e64 v11, s[4:5], v37, v11, s[4:5]
	global_load_ushort v38, v[10:11], off
.LBB12_16:                              ;   in Loop: Header=BB12_9 Depth=2
	s_or_b64 exec, exec, s[6:7]
	v_mul_lo_u32 v10, v32, s29
	v_cmp_lt_i32_e64 s[4:5], v32, v31
	s_and_b64 s[6:7], s[8:9], s[4:5]
	s_and_b64 s[42:43], s[2:3], s[6:7]
	v_ashrrev_i32_e32 v11, 31, v10
	s_and_saveexec_b64 s[10:11], s[42:43]
	s_cbranch_execz .LBB12_18
; %bb.17:                               ;   in Loop: Header=BB12_9 Depth=2
	v_lshlrev_b64 v[12:13], 1, v[10:11]
	v_add_co_u32_e64 v12, s[6:7], v36, v12
	v_addc_co_u32_e64 v13, s[6:7], v37, v13, s[6:7]
	global_load_ushort v34, v[12:13], off
.LBB12_18:                              ;   in Loop: Header=BB12_9 Depth=2
	s_or_b64 exec, exec, s[10:11]
	v_add_u32_e32 v33, s59, v6
	v_mul_lo_u32 v12, v33, s29
	v_cmp_lt_i32_e64 s[6:7], v33, v31
	s_and_b64 s[8:9], s[8:9], s[6:7]
	s_and_b64 s[44:45], s[2:3], s[8:9]
	v_mov_b32_e32 v35, 0
	v_ashrrev_i32_e32 v13, 31, v12
	v_mov_b32_e32 v39, 0
	s_and_saveexec_b64 s[10:11], s[44:45]
	s_cbranch_execz .LBB12_20
; %bb.19:                               ;   in Loop: Header=BB12_9 Depth=2
	v_lshlrev_b64 v[39:40], 1, v[12:13]
	v_add_co_u32_e64 v36, s[8:9], v36, v39
	v_addc_co_u32_e64 v37, s[8:9], v37, v40, s[8:9]
	global_load_ushort v39, v[36:37], off
.LBB12_20:                              ;   in Loop: Header=BB12_9 Depth=2
	s_or_b64 exec, exec, s[10:11]
	v_add_u32_e32 v41, s24, v7
	v_mul_lo_u32 v36, v41, s28
	v_cmp_lt_i32_e64 s[8:9], v41, v29
	v_ashrrev_i32_e32 v37, 31, v36
	v_lshlrev_b64 v[42:43], 1, v[36:37]
	v_add_co_u32_e64 v37, s[10:11], v16, v42
	v_addc_co_u32_e64 v42, s[10:11], v17, v43, s[10:11]
	s_and_b64 s[10:11], s[8:9], vcc
	s_and_b64 s[50:51], s[2:3], s[10:11]
	s_and_saveexec_b64 s[46:47], s[50:51]
	s_cbranch_execz .LBB12_22
; %bb.21:                               ;   in Loop: Header=BB12_9 Depth=2
	v_lshlrev_b64 v[35:36], 1, v[8:9]
	v_add_co_u32_e64 v35, s[10:11], v37, v35
	v_addc_co_u32_e64 v36, s[10:11], v42, v36, s[10:11]
	global_load_ushort v35, v[35:36], off
.LBB12_22:                              ;   in Loop: Header=BB12_9 Depth=2
	s_or_b64 exec, exec, s[46:47]
	s_and_b64 s[10:11], s[8:9], s[4:5]
	s_and_b64 s[48:49], s[2:3], s[10:11]
	v_mov_b32_e32 v36, 0
	v_mov_b32_e32 v40, 0
	s_and_saveexec_b64 s[46:47], s[48:49]
	s_cbranch_execz .LBB12_24
; %bb.23:                               ;   in Loop: Header=BB12_9 Depth=2
	v_lshlrev_b64 v[43:44], 1, v[10:11]
	v_add_co_u32_e64 v43, s[10:11], v37, v43
	v_addc_co_u32_e64 v44, s[10:11], v42, v44, s[10:11]
	global_load_ushort v40, v[43:44], off
.LBB12_24:                              ;   in Loop: Header=BB12_9 Depth=2
	s_or_b64 exec, exec, s[46:47]
	s_and_b64 s[8:9], s[8:9], s[6:7]
	s_and_b64 s[46:47], s[2:3], s[8:9]
	s_and_saveexec_b64 s[10:11], s[46:47]
	s_cbranch_execz .LBB12_26
; %bb.25:                               ;   in Loop: Header=BB12_9 Depth=2
	v_lshlrev_b64 v[43:44], 1, v[12:13]
	v_add_co_u32_e64 v36, s[8:9], v37, v43
	v_addc_co_u32_e64 v37, s[8:9], v42, v44, s[8:9]
	global_load_ushort v36, v[36:37], off
.LBB12_26:                              ;   in Loop: Header=BB12_9 Depth=2
	s_or_b64 exec, exec, s[10:11]
	v_add_u32_e32 v42, s24, v41
	v_mul_lo_u32 v43, v42, s28
	v_cmp_lt_i32_e64 s[8:9], v42, v29
	v_mov_b32_e32 v37, 0
	v_ashrrev_i32_e32 v44, 31, v43
	v_lshlrev_b64 v[44:45], 1, v[43:44]
	v_mov_b32_e32 v43, 0
	v_add_co_u32_e64 v44, s[10:11], v16, v44
	v_addc_co_u32_e64 v45, s[10:11], v17, v45, s[10:11]
	s_and_b64 s[10:11], s[8:9], vcc
	s_and_b64 s[52:53], s[2:3], s[10:11]
	s_and_saveexec_b64 s[10:11], s[52:53]
	s_cbranch_execz .LBB12_28
; %bb.27:                               ;   in Loop: Header=BB12_9 Depth=2
	v_lshlrev_b64 v[8:9], 1, v[8:9]
	v_add_co_u32_e32 v8, vcc, v44, v8
	v_addc_co_u32_e32 v9, vcc, v45, v9, vcc
	global_load_ushort v43, v[8:9], off
.LBB12_28:                              ;   in Loop: Header=BB12_9 Depth=2
	s_or_b64 exec, exec, s[10:11]
	s_and_b64 s[4:5], s[8:9], s[4:5]
	s_and_b64 s[10:11], s[2:3], s[4:5]
	s_and_saveexec_b64 s[4:5], s[10:11]
	s_cbranch_execz .LBB12_30
; %bb.29:                               ;   in Loop: Header=BB12_9 Depth=2
	v_lshlrev_b64 v[8:9], 1, v[10:11]
	v_add_co_u32_e32 v8, vcc, v44, v8
	v_addc_co_u32_e32 v9, vcc, v45, v9, vcc
	global_load_ushort v37, v[8:9], off
.LBB12_30:                              ;   in Loop: Header=BB12_9 Depth=2
	s_or_b64 exec, exec, s[4:5]
	s_and_b64 s[4:5], s[8:9], s[6:7]
	s_and_b64 s[6:7], s[2:3], s[4:5]
	v_mov_b32_e32 v8, 0
	s_and_saveexec_b64 s[4:5], s[6:7]
	s_cbranch_execz .LBB12_32
; %bb.31:                               ;   in Loop: Header=BB12_9 Depth=2
	v_lshlrev_b64 v[8:9], 1, v[12:13]
	v_add_co_u32_e32 v8, vcc, v44, v8
	v_addc_co_u32_e32 v9, vcc, v45, v9, vcc
	global_load_ushort v8, v[8:9], off
.LBB12_32:                              ;   in Loop: Header=BB12_9 Depth=2
	s_or_b64 exec, exec, s[4:5]
	v_mul_lo_u32 v9, v7, s15
	s_and_saveexec_b64 s[8:9], s[40:41]
	s_cbranch_execz .LBB12_35
; %bb.33:                               ;   in Loop: Header=BB12_9 Depth=2
	ds_read_u16 v10, v18
	s_waitcnt vmcnt(0)
	v_lshlrev_b32_e32 v11, 16, v38
	v_cmp_u_f32_e64 s[4:5], v11, v11
	s_waitcnt lgkmcnt(0)
	v_lshlrev_b32_e32 v10, 16, v10
	v_cmp_gt_f32_e32 vcc, v11, v10
	s_or_b64 s[4:5], s[4:5], vcc
	s_and_b64 exec, exec, s[4:5]
	s_cbranch_execz .LBB12_35
; %bb.34:                               ;   in Loop: Header=BB12_9 Depth=2
	v_add_u32_e32 v10, v6, v9
	ds_write_b16 v18, v38
	ds_write_b32 v0, v10
.LBB12_35:                              ;   in Loop: Header=BB12_9 Depth=2
	s_or_b64 exec, exec, s[8:9]
	s_and_saveexec_b64 s[8:9], s[42:43]
	s_cbranch_execz .LBB12_38
; %bb.36:                               ;   in Loop: Header=BB12_9 Depth=2
	ds_read_u16 v10, v18
	s_waitcnt vmcnt(0)
	v_lshlrev_b32_e32 v11, 16, v34
	v_cmp_u_f32_e64 s[4:5], v11, v11
	s_waitcnt lgkmcnt(0)
	v_lshlrev_b32_e32 v10, 16, v10
	v_cmp_gt_f32_e32 vcc, v11, v10
	s_or_b64 s[4:5], s[4:5], vcc
	s_and_b64 exec, exec, s[4:5]
	s_cbranch_execz .LBB12_38
; %bb.37:                               ;   in Loop: Header=BB12_9 Depth=2
	v_add_u32_e32 v10, v32, v9
	ds_write_b16 v18, v34
	ds_write_b32 v0, v10
.LBB12_38:                              ;   in Loop: Header=BB12_9 Depth=2
	s_or_b64 exec, exec, s[8:9]
	s_and_saveexec_b64 s[8:9], s[44:45]
	s_cbranch_execz .LBB12_41
; %bb.39:                               ;   in Loop: Header=BB12_9 Depth=2
	ds_read_u16 v10, v18
	s_waitcnt vmcnt(0)
	v_lshlrev_b32_e32 v11, 16, v39
	v_cmp_u_f32_e64 s[4:5], v11, v11
	s_waitcnt lgkmcnt(0)
	v_lshlrev_b32_e32 v10, 16, v10
	v_cmp_gt_f32_e32 vcc, v11, v10
	s_or_b64 s[4:5], s[4:5], vcc
	s_and_b64 exec, exec, s[4:5]
	s_cbranch_execz .LBB12_41
; %bb.40:                               ;   in Loop: Header=BB12_9 Depth=2
	v_add_u32_e32 v9, v33, v9
	ds_write_b16 v18, v39
	ds_write_b32 v0, v9
.LBB12_41:                              ;   in Loop: Header=BB12_9 Depth=2
	s_or_b64 exec, exec, s[8:9]
	v_mul_lo_u32 v9, v41, s15
	s_and_saveexec_b64 s[8:9], s[50:51]
	s_cbranch_execz .LBB12_44
; %bb.42:                               ;   in Loop: Header=BB12_9 Depth=2
	ds_read_u16 v10, v18
	s_waitcnt vmcnt(0)
	v_lshlrev_b32_e32 v11, 16, v35
	v_cmp_u_f32_e64 s[4:5], v11, v11
	s_waitcnt lgkmcnt(0)
	v_lshlrev_b32_e32 v10, 16, v10
	v_cmp_gt_f32_e32 vcc, v11, v10
	s_or_b64 s[4:5], s[4:5], vcc
	s_and_b64 exec, exec, s[4:5]
	s_cbranch_execz .LBB12_44
; %bb.43:                               ;   in Loop: Header=BB12_9 Depth=2
	v_add_u32_e32 v10, v6, v9
	ds_write_b16 v18, v35
	ds_write_b32 v0, v10
.LBB12_44:                              ;   in Loop: Header=BB12_9 Depth=2
	s_or_b64 exec, exec, s[8:9]
	s_and_saveexec_b64 s[8:9], s[48:49]
	s_cbranch_execz .LBB12_47
; %bb.45:                               ;   in Loop: Header=BB12_9 Depth=2
	ds_read_u16 v10, v18
	s_waitcnt vmcnt(0)
	v_lshlrev_b32_e32 v11, 16, v40
	v_cmp_u_f32_e64 s[4:5], v11, v11
	s_waitcnt lgkmcnt(0)
	v_lshlrev_b32_e32 v10, 16, v10
	v_cmp_gt_f32_e32 vcc, v11, v10
	s_or_b64 s[4:5], s[4:5], vcc
	s_and_b64 exec, exec, s[4:5]
	s_cbranch_execz .LBB12_47
; %bb.46:                               ;   in Loop: Header=BB12_9 Depth=2
	v_add_u32_e32 v10, v32, v9
	ds_write_b16 v18, v40
	ds_write_b32 v0, v10
.LBB12_47:                              ;   in Loop: Header=BB12_9 Depth=2
	s_or_b64 exec, exec, s[8:9]
	s_and_saveexec_b64 s[8:9], s[46:47]
	s_cbranch_execz .LBB12_50
; %bb.48:                               ;   in Loop: Header=BB12_9 Depth=2
	ds_read_u16 v10, v18
	s_waitcnt vmcnt(0)
	v_lshlrev_b32_e32 v11, 16, v36
	v_cmp_u_f32_e64 s[4:5], v11, v11
	s_waitcnt lgkmcnt(0)
	v_lshlrev_b32_e32 v10, 16, v10
	v_cmp_gt_f32_e32 vcc, v11, v10
	s_or_b64 s[4:5], s[4:5], vcc
	s_and_b64 exec, exec, s[4:5]
	s_cbranch_execz .LBB12_50
; %bb.49:                               ;   in Loop: Header=BB12_9 Depth=2
	v_add_u32_e32 v9, v33, v9
	ds_write_b16 v18, v36
	ds_write_b32 v0, v9
.LBB12_50:                              ;   in Loop: Header=BB12_9 Depth=2
	s_or_b64 exec, exec, s[8:9]
	v_mul_lo_u32 v9, v42, s15
	s_and_saveexec_b64 s[8:9], s[52:53]
	s_cbranch_execz .LBB12_53
; %bb.51:                               ;   in Loop: Header=BB12_9 Depth=2
	ds_read_u16 v10, v18
	s_waitcnt vmcnt(0)
	v_lshlrev_b32_e32 v11, 16, v43
	v_cmp_u_f32_e64 s[4:5], v11, v11
	s_waitcnt lgkmcnt(0)
	v_lshlrev_b32_e32 v10, 16, v10
	v_cmp_gt_f32_e32 vcc, v11, v10
	s_or_b64 s[4:5], s[4:5], vcc
	s_and_b64 exec, exec, s[4:5]
	s_cbranch_execz .LBB12_53
; %bb.52:                               ;   in Loop: Header=BB12_9 Depth=2
	v_add_u32_e32 v10, v6, v9
	ds_write_b16 v18, v43
	ds_write_b32 v0, v10
.LBB12_53:                              ;   in Loop: Header=BB12_9 Depth=2
	s_or_b64 exec, exec, s[8:9]
	s_and_saveexec_b64 s[8:9], s[10:11]
	s_cbranch_execz .LBB12_56
; %bb.54:                               ;   in Loop: Header=BB12_9 Depth=2
	ds_read_u16 v10, v18
	s_waitcnt vmcnt(0)
	v_lshlrev_b32_e32 v11, 16, v37
	v_cmp_u_f32_e64 s[4:5], v11, v11
	s_waitcnt lgkmcnt(0)
	v_lshlrev_b32_e32 v10, 16, v10
	v_cmp_gt_f32_e32 vcc, v11, v10
	s_or_b64 s[4:5], s[4:5], vcc
	s_and_b64 exec, exec, s[4:5]
	s_cbranch_execz .LBB12_56
; %bb.55:                               ;   in Loop: Header=BB12_9 Depth=2
	v_add_u32_e32 v10, v32, v9
	ds_write_b16 v18, v37
	ds_write_b32 v0, v10
.LBB12_56:                              ;   in Loop: Header=BB12_9 Depth=2
	s_or_b64 exec, exec, s[8:9]
	s_and_saveexec_b64 s[8:9], s[6:7]
	s_cbranch_execz .LBB12_59
; %bb.57:                               ;   in Loop: Header=BB12_9 Depth=2
	ds_read_u16 v10, v18
	s_waitcnt vmcnt(0)
	v_lshlrev_b32_e32 v11, 16, v8
	v_cmp_u_f32_e64 s[4:5], v11, v11
	s_waitcnt lgkmcnt(0)
	v_lshlrev_b32_e32 v10, 16, v10
	v_cmp_gt_f32_e32 vcc, v11, v10
	s_or_b64 s[4:5], s[4:5], vcc
	s_and_b64 exec, exec, s[4:5]
	s_cbranch_execz .LBB12_59
; %bb.58:                               ;   in Loop: Header=BB12_9 Depth=2
	v_add_u32_e32 v9, v33, v9
	ds_write_b16 v18, v8
	ds_write_b32 v0, v9
.LBB12_59:                              ;   in Loop: Header=BB12_9 Depth=2
	s_or_b64 exec, exec, s[8:9]
	s_branch .LBB12_13
.LBB12_60:                              ;   in Loop: Header=BB12_9 Depth=2
	v_cmp_lt_i32_e32 vcc, v7, v29
	s_and_saveexec_b64 s[8:9], vcc
	s_cbranch_execz .LBB12_71
; %bb.61:                               ;   in Loop: Header=BB12_9 Depth=2
	v_cmp_lt_i32_e32 vcc, v6, v31
	s_mov_b64 s[10:11], 0
	v_mov_b32_e32 v10, v7
	s_branch .LBB12_63
.LBB12_62:                              ;   in Loop: Header=BB12_63 Depth=3
	s_or_b64 exec, exec, s[40:41]
	v_add_u32_e32 v10, s24, v10
	v_cmp_ge_i32_e64 s[4:5], v10, v29
	s_or_b64 s[10:11], s[4:5], s[10:11]
	s_andn2_b64 exec, exec, s[10:11]
	s_cbranch_execz .LBB12_71
.LBB12_63:                              ;   Parent Loop BB12_6 Depth=1
                                        ;     Parent Loop BB12_9 Depth=2
                                        ; =>    This Loop Header: Depth=3
                                        ;         Child Loop BB12_66 Depth 4
                                        ;           Child Loop BB12_69 Depth 5
	s_and_saveexec_b64 s[40:41], vcc
	s_cbranch_execz .LBB12_62
; %bb.64:                               ;   in Loop: Header=BB12_63 Depth=3
	s_waitcnt vmcnt(0)
	v_mul_lo_u32 v8, v10, s28
	v_mul_lo_u32 v11, v10, s15
	v_mov_b32_e32 v13, s55
	s_mov_b64 s[42:43], 0
	v_ashrrev_i32_e32 v9, 31, v8
	v_lshlrev_b64 v[8:9], 1, v[8:9]
	v_mov_b32_e32 v32, v6
	v_add_co_u32_e64 v12, s[4:5], s12, v8
	v_addc_co_u32_e64 v13, s[4:5], v13, v9, s[4:5]
	s_branch .LBB12_66
.LBB12_65:                              ;   in Loop: Header=BB12_66 Depth=4
	s_or_b64 exec, exec, s[44:45]
	v_add_u32_e32 v32, s25, v32
	v_cmp_ge_i32_e64 s[4:5], v32, v31
	s_or_b64 s[42:43], s[4:5], s[42:43]
	s_andn2_b64 exec, exec, s[42:43]
	s_cbranch_execz .LBB12_62
.LBB12_66:                              ;   Parent Loop BB12_6 Depth=1
                                        ;     Parent Loop BB12_9 Depth=2
                                        ;       Parent Loop BB12_63 Depth=3
                                        ; =>      This Loop Header: Depth=4
                                        ;           Child Loop BB12_69 Depth 5
	s_and_saveexec_b64 s[44:45], s[2:3]
	s_cbranch_execz .LBB12_65
; %bb.67:                               ;   in Loop: Header=BB12_66 Depth=4
	v_mul_lo_u32 v8, v32, s29
	v_add_u32_e32 v33, v32, v11
	s_mov_b64 s[46:47], 0
	v_mov_b32_e32 v36, v21
	v_ashrrev_i32_e32 v9, 31, v8
	v_lshlrev_b64 v[8:9], 1, v[8:9]
	v_mov_b32_e32 v37, v20
	v_add_co_u32_e64 v34, s[4:5], v12, v8
	v_addc_co_u32_e64 v35, s[4:5], v13, v9, s[4:5]
	v_mov_b32_e32 v8, v4
	v_mov_b32_e32 v38, v2
	s_branch .LBB12_69
.LBB12_68:                              ;   in Loop: Header=BB12_69 Depth=5
	s_or_b64 exec, exec, s[4:5]
	v_add_u32_e32 v38, s18, v38
	v_cmp_le_i32_e64 s[4:5], s13, v38
	v_add_u32_e32 v8, s62, v8
	v_add_u32_e32 v37, s60, v37
	s_or_b64 s[46:47], s[4:5], s[46:47]
	v_add_u32_e32 v36, s61, v36
	s_andn2_b64 exec, exec, s[46:47]
	s_cbranch_execz .LBB12_65
.LBB12_69:                              ;   Parent Loop BB12_6 Depth=1
                                        ;     Parent Loop BB12_9 Depth=2
                                        ;       Parent Loop BB12_63 Depth=3
                                        ;         Parent Loop BB12_66 Depth=4
                                        ; =>        This Inner Loop Header: Depth=5
	v_ashrrev_i32_e32 v9, 31, v8
	v_lshlrev_b64 v[39:40], 1, v[8:9]
	v_add_co_u32_e64 v39, s[4:5], v34, v39
	v_addc_co_u32_e64 v40, s[4:5], v35, v40, s[4:5]
	global_load_ushort v9, v[39:40], off
	ds_read_u16 v39, v37
	s_waitcnt lgkmcnt(0)
	v_lshlrev_b32_e32 v39, 16, v39
	s_waitcnt vmcnt(0)
	v_lshlrev_b32_e32 v40, 16, v9
	v_cmp_gt_f32_e64 s[4:5], v40, v39
	v_cmp_u_f32_e64 s[6:7], v40, v40
	s_or_b64 s[6:7], s[6:7], s[4:5]
	s_and_saveexec_b64 s[4:5], s[6:7]
	s_cbranch_execz .LBB12_68
; %bb.70:                               ;   in Loop: Header=BB12_69 Depth=5
	ds_write_b16 v37, v9
	ds_write_b32 v36, v33
	s_branch .LBB12_68
.LBB12_71:                              ;   in Loop: Header=BB12_9 Depth=2
	s_or_b64 exec, exec, s[8:9]
	s_and_saveexec_b64 s[4:5], s[2:3]
	s_cbranch_execz .LBB12_8
.LBB12_72:                              ;   in Loop: Header=BB12_9 Depth=2
	v_ashrrev_i32_e32 v6, 31, v5
	s_waitcnt vmcnt(0)
	v_lshlrev_b64 v[8:9], 1, v[5:6]
	v_lshlrev_b64 v[10:11], 3, v[5:6]
	v_add_co_u32_e32 v8, vcc, v22, v8
	v_addc_co_u32_e32 v9, vcc, v23, v9, vcc
	v_add_co_u32_e32 v10, vcc, v3, v10
	v_addc_co_u32_e32 v11, vcc, v24, v11, vcc
	s_mov_b64 s[6:7], 0
	v_mov_b32_e32 v6, v21
	v_mov_b32_e32 v12, v20
	;; [unrolled: 1-line block ×3, first 2 shown]
.LBB12_73:                              ;   Parent Loop BB12_6 Depth=1
                                        ;     Parent Loop BB12_9 Depth=2
                                        ; =>    This Inner Loop Header: Depth=3
	ds_read_u16 v32, v12
	ds_read_b32 v31, v6
	v_add_u32_e32 v13, s18, v13
	v_cmp_le_i32_e32 vcc, s13, v13
	ds_write_b16 v12, v28
	ds_write_b32 v6, v27
	v_mov_b32_e32 v33, s31
	s_or_b64 s[6:7], vcc, s[6:7]
	s_waitcnt lgkmcnt(3)
	global_store_short v[8:9], v32, off
	v_add_co_u32_e32 v8, vcc, s30, v8
	s_waitcnt lgkmcnt(2)
	v_ashrrev_i32_e32 v32, 31, v31
	v_addc_co_u32_e32 v9, vcc, v9, v33, vcc
	v_mov_b32_e32 v34, s17
	global_store_dwordx2 v[10:11], v[31:32], off
	v_add_co_u32_e32 v10, vcc, s16, v10
	v_add_u32_e32 v12, s60, v12
	v_add_u32_e32 v6, s61, v6
	v_addc_co_u32_e32 v11, vcc, v11, v34, vcc
	s_andn2_b64 exec, exec, s[6:7]
	s_cbranch_execnz .LBB12_73
	s_branch .LBB12_8
.LBB12_74:
	s_endpgm
	.section	.rodata,"a",@progbits
	.p2align	6, 0x0
	.amdhsa_kernel _ZN2at6native12_GLOBAL__N_121max_pool_forward_nhwcIN3c108BFloat16EiEEvPKT_iT0_S8_S8_S8_S8_iiiiiiiiS8_S8_S8_S8_iiPS5_Pl
		.amdhsa_group_segment_fixed_size 0
		.amdhsa_private_segment_fixed_size 0
		.amdhsa_kernarg_size 360
		.amdhsa_user_sgpr_count 6
		.amdhsa_user_sgpr_private_segment_buffer 1
		.amdhsa_user_sgpr_dispatch_ptr 0
		.amdhsa_user_sgpr_queue_ptr 0
		.amdhsa_user_sgpr_kernarg_segment_ptr 1
		.amdhsa_user_sgpr_dispatch_id 0
		.amdhsa_user_sgpr_flat_scratch_init 0
		.amdhsa_user_sgpr_private_segment_size 0
		.amdhsa_uses_dynamic_stack 0
		.amdhsa_system_sgpr_private_segment_wavefront_offset 0
		.amdhsa_system_sgpr_workgroup_id_x 1
		.amdhsa_system_sgpr_workgroup_id_y 1
		.amdhsa_system_sgpr_workgroup_id_z 1
		.amdhsa_system_sgpr_workgroup_info 0
		.amdhsa_system_vgpr_workitem_id 2
		.amdhsa_next_free_vgpr 46
		.amdhsa_next_free_sgpr 65
		.amdhsa_reserve_vcc 1
		.amdhsa_reserve_flat_scratch 0
		.amdhsa_float_round_mode_32 0
		.amdhsa_float_round_mode_16_64 0
		.amdhsa_float_denorm_mode_32 3
		.amdhsa_float_denorm_mode_16_64 3
		.amdhsa_dx10_clamp 1
		.amdhsa_ieee_mode 1
		.amdhsa_fp16_overflow 0
		.amdhsa_exception_fp_ieee_invalid_op 0
		.amdhsa_exception_fp_denorm_src 0
		.amdhsa_exception_fp_ieee_div_zero 0
		.amdhsa_exception_fp_ieee_overflow 0
		.amdhsa_exception_fp_ieee_underflow 0
		.amdhsa_exception_fp_ieee_inexact 0
		.amdhsa_exception_int_div_zero 0
	.end_amdhsa_kernel
	.section	.text._ZN2at6native12_GLOBAL__N_121max_pool_forward_nhwcIN3c108BFloat16EiEEvPKT_iT0_S8_S8_S8_S8_iiiiiiiiS8_S8_S8_S8_iiPS5_Pl,"axG",@progbits,_ZN2at6native12_GLOBAL__N_121max_pool_forward_nhwcIN3c108BFloat16EiEEvPKT_iT0_S8_S8_S8_S8_iiiiiiiiS8_S8_S8_S8_iiPS5_Pl,comdat
.Lfunc_end12:
	.size	_ZN2at6native12_GLOBAL__N_121max_pool_forward_nhwcIN3c108BFloat16EiEEvPKT_iT0_S8_S8_S8_S8_iiiiiiiiS8_S8_S8_S8_iiPS5_Pl, .Lfunc_end12-_ZN2at6native12_GLOBAL__N_121max_pool_forward_nhwcIN3c108BFloat16EiEEvPKT_iT0_S8_S8_S8_S8_iiiiiiiiS8_S8_S8_S8_iiPS5_Pl
                                        ; -- End function
	.set _ZN2at6native12_GLOBAL__N_121max_pool_forward_nhwcIN3c108BFloat16EiEEvPKT_iT0_S8_S8_S8_S8_iiiiiiiiS8_S8_S8_S8_iiPS5_Pl.num_vgpr, 46
	.set _ZN2at6native12_GLOBAL__N_121max_pool_forward_nhwcIN3c108BFloat16EiEEvPKT_iT0_S8_S8_S8_S8_iiiiiiiiS8_S8_S8_S8_iiPS5_Pl.num_agpr, 0
	.set _ZN2at6native12_GLOBAL__N_121max_pool_forward_nhwcIN3c108BFloat16EiEEvPKT_iT0_S8_S8_S8_S8_iiiiiiiiS8_S8_S8_S8_iiPS5_Pl.numbered_sgpr, 65
	.set _ZN2at6native12_GLOBAL__N_121max_pool_forward_nhwcIN3c108BFloat16EiEEvPKT_iT0_S8_S8_S8_S8_iiiiiiiiS8_S8_S8_S8_iiPS5_Pl.num_named_barrier, 0
	.set _ZN2at6native12_GLOBAL__N_121max_pool_forward_nhwcIN3c108BFloat16EiEEvPKT_iT0_S8_S8_S8_S8_iiiiiiiiS8_S8_S8_S8_iiPS5_Pl.private_seg_size, 0
	.set _ZN2at6native12_GLOBAL__N_121max_pool_forward_nhwcIN3c108BFloat16EiEEvPKT_iT0_S8_S8_S8_S8_iiiiiiiiS8_S8_S8_S8_iiPS5_Pl.uses_vcc, 1
	.set _ZN2at6native12_GLOBAL__N_121max_pool_forward_nhwcIN3c108BFloat16EiEEvPKT_iT0_S8_S8_S8_S8_iiiiiiiiS8_S8_S8_S8_iiPS5_Pl.uses_flat_scratch, 0
	.set _ZN2at6native12_GLOBAL__N_121max_pool_forward_nhwcIN3c108BFloat16EiEEvPKT_iT0_S8_S8_S8_S8_iiiiiiiiS8_S8_S8_S8_iiPS5_Pl.has_dyn_sized_stack, 0
	.set _ZN2at6native12_GLOBAL__N_121max_pool_forward_nhwcIN3c108BFloat16EiEEvPKT_iT0_S8_S8_S8_S8_iiiiiiiiS8_S8_S8_S8_iiPS5_Pl.has_recursion, 0
	.set _ZN2at6native12_GLOBAL__N_121max_pool_forward_nhwcIN3c108BFloat16EiEEvPKT_iT0_S8_S8_S8_S8_iiiiiiiiS8_S8_S8_S8_iiPS5_Pl.has_indirect_call, 0
	.section	.AMDGPU.csdata,"",@progbits
; Kernel info:
; codeLenInByte = 3256
; TotalNumSgprs: 69
; NumVgprs: 46
; ScratchSize: 0
; MemoryBound: 0
; FloatMode: 240
; IeeeMode: 1
; LDSByteSize: 0 bytes/workgroup (compile time only)
; SGPRBlocks: 8
; VGPRBlocks: 11
; NumSGPRsForWavesPerEU: 69
; NumVGPRsForWavesPerEU: 46
; Occupancy: 5
; WaveLimiterHint : 1
; COMPUTE_PGM_RSRC2:SCRATCH_EN: 0
; COMPUTE_PGM_RSRC2:USER_SGPR: 6
; COMPUTE_PGM_RSRC2:TRAP_HANDLER: 0
; COMPUTE_PGM_RSRC2:TGID_X_EN: 1
; COMPUTE_PGM_RSRC2:TGID_Y_EN: 1
; COMPUTE_PGM_RSRC2:TGID_Z_EN: 1
; COMPUTE_PGM_RSRC2:TIDIG_COMP_CNT: 2
	.section	.text._ZN2at6native12_GLOBAL__N_121max_pool_forward_nhwcIN3c108BFloat16ElEEvPKT_iT0_S8_S8_S8_S8_iiiiiiiiS8_S8_S8_S8_iiPS5_Pl,"axG",@progbits,_ZN2at6native12_GLOBAL__N_121max_pool_forward_nhwcIN3c108BFloat16ElEEvPKT_iT0_S8_S8_S8_S8_iiiiiiiiS8_S8_S8_S8_iiPS5_Pl,comdat
	.globl	_ZN2at6native12_GLOBAL__N_121max_pool_forward_nhwcIN3c108BFloat16ElEEvPKT_iT0_S8_S8_S8_S8_iiiiiiiiS8_S8_S8_S8_iiPS5_Pl ; -- Begin function _ZN2at6native12_GLOBAL__N_121max_pool_forward_nhwcIN3c108BFloat16ElEEvPKT_iT0_S8_S8_S8_S8_iiiiiiiiS8_S8_S8_S8_iiPS5_Pl
	.p2align	8
	.type	_ZN2at6native12_GLOBAL__N_121max_pool_forward_nhwcIN3c108BFloat16ElEEvPKT_iT0_S8_S8_S8_S8_iiiiiiiiS8_S8_S8_S8_iiPS5_Pl,@function
_ZN2at6native12_GLOBAL__N_121max_pool_forward_nhwcIN3c108BFloat16ElEEvPKT_iT0_S8_S8_S8_S8_iiiiiiiiS8_S8_S8_S8_iiPS5_Pl: ; @_ZN2at6native12_GLOBAL__N_121max_pool_forward_nhwcIN3c108BFloat16ElEEvPKT_iT0_S8_S8_S8_S8_iiiiiiiiS8_S8_S8_S8_iiPS5_Pl
; %bb.0:
	s_load_dwordx4 s[0:3], s[4:5], 0x94
	s_load_dwordx2 s[10:11], s[4:5], 0x78
	s_waitcnt lgkmcnt(0)
	s_lshr_b32 s60, s2, 16
	s_and_b32 s9, s2, 0xffff
	v_mad_u32_u24 v6, v2, s60, v1
	s_and_b32 s33, s3, 0xffff
	v_mad_u64_u32 v[3:4], s[2:3], v6, s9, v[0:1]
	s_mul_i32 s14, s11, s9
	s_mul_i32 s15, s14, s60
	;; [unrolled: 1-line block ×3, first 2 shown]
	v_cmp_gt_u32_e32 vcc, s15, v3
	s_and_saveexec_b64 s[2:3], vcc
	s_cbranch_execz .LBB13_3
; %bb.1:
	s_mul_i32 s16, s60, s9
	s_lshl_b32 s12, s15, 3
	s_mul_i32 s16, s16, s33
	s_add_i32 s12, s12, 0
	v_mov_b32_e32 v4, 0
	v_lshl_add_u32 v7, v3, 1, s12
	s_lshl_b32 s17, s16, 1
	v_lshl_add_u32 v8, v3, 3, 0
	s_lshl_b32 s18, s16, 3
	s_mov_b64 s[12:13], 0
	v_mov_b32_e32 v9, 0xffffff80
	v_mov_b32_e32 v5, v4
.LBB13_2:                               ; =>This Inner Loop Header: Depth=1
	v_add_u32_e32 v3, s16, v3
	v_cmp_le_u32_e32 vcc, s15, v3
	ds_write_b16 v7, v9
	ds_write_b64 v8, v[4:5]
	v_add_u32_e32 v7, s17, v7
	s_or_b64 s[12:13], vcc, s[12:13]
	v_add_u32_e32 v8, s18, v8
	s_andn2_b64 exec, exec, s[12:13]
	s_cbranch_execnz .LBB13_2
.LBB13_3:
	s_or_b64 exec, exec, s[2:3]
	v_cvt_f32_u32_e32 v3, s1
	s_load_dword s2, s[4:5], 0x8
	s_load_dwordx8 s[20:27], s[4:5], 0x10
	s_sub_i32 s3, 0, s1
	s_waitcnt lgkmcnt(0)
	v_rcp_iflag_f32_e32 v3, v3
	v_cvt_f32_u32_e32 v4, s2
	s_add_i32 s12, s26, s1
	s_add_i32 s12, s12, -1
	v_mul_f32_e32 v3, 0x4f7ffffe, v3
	v_cvt_u32_f32_e32 v3, v3
	v_rcp_iflag_f32_e32 v4, v4
	s_barrier
	v_readfirstlane_b32 s13, v3
	s_mul_i32 s16, s3, s13
	s_mul_hi_u32 s16, s13, s16
	s_add_i32 s13, s13, s16
	s_mul_hi_u32 s13, s12, s13
	v_cvt_f32_u32_e32 v3, s0
	s_mul_i32 s16, s13, s1
	s_sub_i32 s12, s12, s16
	s_add_i32 s16, s13, 1
	s_sub_i32 s17, s12, s1
	v_rcp_iflag_f32_e32 v3, v3
	s_cmp_ge_u32 s12, s1
	s_cselect_b32 s13, s16, s13
	s_cselect_b32 s12, s17, s12
	s_add_i32 s16, s13, 1
	s_cmp_ge_u32 s12, s1
	v_mul_f32_e32 v4, 0x4f7ffffe, v4
	v_mul_f32_e32 v3, 0x4f7ffffe, v3
	s_cselect_b32 s12, s16, s13
	v_cvt_u32_f32_e32 v4, v4
	v_cvt_u32_f32_e32 v3, v3
	s_mul_i32 s8, s12, s8
	v_add_u32_e32 v33, s8, v2
	v_add_u32_e32 v2, s12, v33
	v_min_i32_e32 v34, s26, v2
	v_readfirstlane_b32 s3, v4
	v_readfirstlane_b32 s1, v3
	v_cmp_lt_i32_e32 vcc, v33, v34
	s_and_saveexec_b64 s[12:13], vcc
	s_cbranch_execz .LBB13_78
; %bb.4:
	s_load_dwordx2 s[18:19], s[4:5], 0x30
	s_load_dwordx2 s[12:13], s[4:5], 0x0
	s_sub_i32 s8, 0, s2
	s_mul_i32 s8, s8, s3
	s_mul_hi_u32 s8, s3, s8
	s_add_i32 s3, s3, s8
	s_waitcnt lgkmcnt(0)
	s_add_i32 s8, s18, s0
	s_add_i32 s28, s8, -1
	s_sub_i32 s8, 0, s0
	s_mul_i32 s8, s8, s1
	s_mul_hi_u32 s3, s6, s3
	s_mul_hi_u32 s8, s1, s8
	s_add_i32 s1, s1, s8
	s_lshl_b32 s8, s15, 3
	s_mul_i32 s15, s3, s2
	s_sub_i32 s15, s6, s15
	s_add_i32 s8, s8, 0
	s_add_i32 s16, s3, 1
	s_sub_i32 s17, s15, s2
	s_cmp_ge_u32 s15, s2
	s_cselect_b32 s3, s16, s3
	s_cselect_b32 s15, s17, s15
	s_add_i32 s16, s3, 1
	s_load_dwordx8 s[36:43], s[4:5], 0x58
	s_cmp_ge_u32 s15, s2
	s_cselect_b32 s15, s16, s3
	s_mul_i32 s2, s15, s2
	s_sub_i32 s2, s6, s2
	s_ashr_i32 s3, s2, 31
	s_waitcnt lgkmcnt(0)
	s_mul_i32 s6, s36, s3
	s_mul_hi_u32 s16, s36, s2
	s_add_i32 s6, s16, s6
	s_mul_i32 s16, s37, s2
	s_add_i32 s17, s6, s16
	s_mul_i32 s16, s36, s2
	s_mul_hi_u32 s1, s28, s1
	s_lshl_b64 s[16:17], s[16:17], 1
	s_add_u32 s61, s12, s16
	s_mul_i32 s6, s1, s0
	s_addc_u32 s62, s13, s17
	s_sub_i32 s6, s28, s6
	s_add_i32 s12, s1, 1
	s_sub_i32 s13, s6, s0
	s_cmp_ge_u32 s6, s0
	s_cselect_b32 s1, s12, s1
	s_cselect_b32 s6, s13, s6
	s_add_i32 s12, s1, 1
	v_mul_lo_u32 v2, s14, v6
	s_cmp_ge_u32 s6, s0
	s_cselect_b32 s12, s12, s1
	s_mul_i32 s0, s12, s7
	s_mul_i32 s15, s15, s9
	v_add_u32_e32 v35, s0, v1
	v_add_u32_e32 v1, s15, v0
	s_load_dwordx8 s[44:51], s[4:5], 0x38
	v_lshlrev_b32_e32 v13, 1, v2
	v_lshlrev_b32_e32 v14, 3, v2
	s_load_dwordx4 s[4:7], s[4:5], 0x80
	v_ashrrev_i32_e32 v2, 31, v1
	s_mul_i32 s28, s10, s9
	v_mul_lo_u32 v9, s38, v2
	v_mul_lo_u32 v10, s39, v1
	v_mad_u64_u32 v[3:4], s[0:1], s38, v1, 0
	v_mov_b32_e32 v5, 0
	v_mov_b32_e32 v7, s28
	;; [unrolled: 1-line block ×3, first 2 shown]
	v_cmp_le_i64_e32 vcc, s[20:21], v[7:8]
	v_lshlrev_b64 v[7:8], 3, v[1:2]
	v_add3_u32 v4, v4, v9, v10
	s_waitcnt lgkmcnt(0)
	v_mov_b32_e32 v9, s7
	v_add_co_u32_e64 v7, s[0:1], s6, v7
	v_addc_co_u32_e64 v8, s[0:1], v9, v8, s[0:1]
	v_lshlrev_b64 v[9:10], 1, v[1:2]
	v_mov_b32_e32 v11, s5
	v_add_co_u32_e64 v9, s[0:1], s4, v9
	v_addc_co_u32_e64 v10, s[0:1], v11, v10, s[0:1]
	v_lshlrev_b64 v[11:12], 1, v[3:4]
	v_mov_b32_e32 v15, s62
	v_add_co_u32_e64 v36, s[0:1], s61, v11
	v_addc_co_u32_e64 v37, s[0:1], v15, v12, s[0:1]
	s_add_i32 s0, s44, -1
	s_add_i32 s4, s45, -1
	s_mul_i32 s0, s50, s0
	s_mul_i32 s4, s51, s4
	s_add_i32 s65, s0, 1
	s_add_i32 s69, s4, 1
	s_ashr_i32 s63, s48, 31
	s_ashr_i32 s66, s65, 31
	s_ashr_i32 s67, s49, 31
	s_ashr_i32 s70, s69, 31
	s_ashr_i32 s31, s50, 31
	s_ashr_i32 s71, s51, 31
	s_max_i32 s4, s44, s45
	s_cmp_lt_i32 s4, 4
	s_mov_b32 s30, s50
	s_cselect_b64 s[4:5], -1, 0
	s_and_b64 s[34:35], s[4:5], vcc
	v_cmp_gt_u64_e64 s[4:5], s[30:31], 1
	s_ashr_i32 s6, s10, 31
	s_and_b64 s[4:5], s[4:5], exec
	s_cselect_b32 s72, s31, 0
	s_cselect_b32 s73, s50, 1
	s_add_u32 s4, s49, s51
	s_addc_u32 s5, s67, s71
	s_sub_u32 s74, 0, s4
	v_add_u32_e32 v11, s12, v35
	s_subb_u32 s75, 0, s5
	s_mul_hi_u32 s4, s38, s10
	s_mul_i32 s5, s38, s6
	v_min_i32_e32 v38, s18, v11
	v_lshlrev_b32_e32 v11, 1, v0
	s_add_i32 s4, s4, s5
	s_mul_i32 s5, s39, s10
	v_add3_u32 v39, s8, v13, v11
	s_add_i32 s4, s4, s5
	s_mul_i32 s5, s60, s33
	v_lshlrev_b32_e32 v13, 1, v6
	v_lshl_add_u32 v13, s5, 3, v13
	s_mul_i32 s5, s38, s10
	v_mul_lo_u32 v6, s11, v6
	v_mul_lo_u32 v13, s11, v13
	s_mul_i32 s4, s4, s9
	s_mul_hi_u32 s6, s5, s9
	s_add_i32 s76, s6, s4
	s_mul_i32 s77, s5, s9
	s_mul_i32 s4, s18, s27
	s_mul_hi_u32 s5, s18, s26
	s_add_i32 s4, s5, s4
	s_mul_i32 s5, s19, s26
	v_mul_lo_u32 v6, v6, s9
	s_add_i32 s4, s4, s5
	s_mul_i32 s5, s18, s26
	v_mul_lo_u32 v13, v13, s9
	s_mul_i32 s3, s5, s3
	s_mul_hi_u32 s6, s5, s2
	s_add_i32 s3, s6, s3
	s_mul_i32 s4, s4, s2
	s_add_i32 s3, s3, s4
	s_mul_i32 s2, s5, s2
	s_mul_hi_i32 s29, s9, s10
	v_lshlrev_b32_e32 v12, 3, v0
	v_lshlrev_b32_e32 v6, 3, v6
	s_lshl_b64 s[26:27], s[2:3], 3
	s_lshl_b64 s[36:37], s[2:3], 1
	v_cmp_le_i64_e64 s[2:3], s[20:21], v[1:2]
	v_cmp_gt_i64_e64 s[4:5], s[20:21], v[1:2]
	s_mov_b32 s64, s48
	v_cmp_lt_i32_e64 s[0:1], v35, v38
	s_mov_b32 s68, s49
	v_add3_u32 v0, 0, v14, v12
	v_add3_u32 v40, v13, v11, 0
	s_lshl_b32 s78, s9, 1
	v_add3_u32 v41, v6, v12, 0
	s_lshl_b32 s79, s9, 3
	v_mov_b32_e32 v42, 0xffffff80
	s_mov_b32 s80, s51
	s_mov_b64 s[38:39], 0
	s_lshl_b64 s[44:45], s[28:29], 3
	s_lshl_b64 s[48:49], s[28:29], 1
	s_branch .LBB13_6
.LBB13_5:                               ;   in Loop: Header=BB13_6 Depth=1
	s_or_b64 exec, exec, s[52:53]
	v_add_u32_e32 v33, s33, v33
	v_cmp_ge_i32_e32 vcc, v33, v34
	s_or_b64 s[38:39], vcc, s[38:39]
	s_andn2_b64 exec, exec, s[38:39]
	s_cbranch_execz .LBB13_78
.LBB13_6:                               ; =>This Loop Header: Depth=1
                                        ;     Child Loop BB13_9 Depth 2
                                        ;       Child Loop BB13_14 Depth 3
                                        ;       Child Loop BB13_67 Depth 3
                                        ;         Child Loop BB13_70 Depth 4
                                        ;           Child Loop BB13_73 Depth 5
                                        ;       Child Loop BB13_77 Depth 3
	s_and_saveexec_b64 s[52:53], s[0:1]
	s_cbranch_execz .LBB13_5
; %bb.7:                                ;   in Loop: Header=BB13_6 Depth=1
	v_ashrrev_i32_e32 v6, 31, v33
	v_mul_lo_u32 v15, s19, v33
	v_mul_lo_u32 v6, s18, v6
	v_mad_u64_u32 v[11:12], s[6:7], s18, v33, 0
	v_mad_i64_i32 v[13:14], s[6:7], v33, s46, 0
	v_add3_u32 v12, v12, v6, v15
	v_mov_b32_e32 v6, s63
	v_subrev_co_u32_e32 v13, vcc, s64, v13
	v_subb_co_u32_e32 v14, vcc, v14, v6, vcc
	v_mov_b32_e32 v6, s66
	v_add_co_u32_e32 v15, vcc, s65, v13
	v_addc_co_u32_e32 v16, vcc, v14, v6, vcc
	v_cmp_gt_i64_e32 vcc, s[22:23], v[15:16]
	v_mov_b32_e32 v6, s23
	v_cndmask_b32_e32 v16, v6, v16, vcc
	v_mov_b32_e32 v6, s22
	v_cndmask_b32_e32 v15, v6, v15, vcc
	s_mov_b64 s[54:55], 0
	v_mov_b32_e32 v43, v35
	s_branch .LBB13_9
.LBB13_8:                               ;   in Loop: Header=BB13_9 Depth=2
	s_or_b64 exec, exec, s[6:7]
	v_add_u32_e32 v43, s60, v43
	v_cmp_ge_i32_e32 vcc, v43, v38
	s_or_b64 s[54:55], vcc, s[54:55]
	s_andn2_b64 exec, exec, s[54:55]
	s_cbranch_execz .LBB13_5
.LBB13_9:                               ;   Parent Loop BB13_6 Depth=1
                                        ; =>  This Loop Header: Depth=2
                                        ;       Child Loop BB13_14 Depth 3
                                        ;       Child Loop BB13_67 Depth 3
                                        ;         Child Loop BB13_70 Depth 4
                                        ;           Child Loop BB13_73 Depth 5
                                        ;       Child Loop BB13_77 Depth 3
	v_cmp_lt_i64_e32 vcc, 0, v[13:14]
	v_lshrrev_b32_e32 v23, 31, v14
	v_cndmask_b32_e32 v6, 0, v14, vcc
	v_cndmask_b32_e32 v17, 0, v13, vcc
	v_add_co_u32_e32 v18, vcc, v13, v23
	v_addc_co_u32_e32 v19, vcc, 0, v14, vcc
	v_sub_co_u32_e32 v17, vcc, v17, v18
	v_subb_co_u32_e32 v18, vcc, v6, v19, vcc
	v_or_b32_e32 v6, s72, v18
	v_cmp_ne_u64_e32 vcc, 0, v[5:6]
                                        ; implicit-def: $vgpr19_vgpr20
	s_and_saveexec_b64 s[6:7], vcc
	s_xor_b64 s[8:9], exec, s[6:7]
	s_cbranch_execz .LBB13_11
; %bb.10:                               ;   in Loop: Header=BB13_9 Depth=2
	v_cvt_f32_u32_e32 v6, s73
	v_cvt_f32_u32_e32 v19, s72
	s_sub_u32 s10, 0, s73
	s_subb_u32 s11, 0, s72
	v_mac_f32_e32 v6, 0x4f800000, v19
	v_rcp_f32_e32 v6, v6
	v_mul_f32_e32 v6, 0x5f7ffffc, v6
	v_mul_f32_e32 v19, 0x2f800000, v6
	v_trunc_f32_e32 v19, v19
	v_mac_f32_e32 v6, 0xcf800000, v19
	v_cvt_u32_f32_e32 v19, v19
	v_cvt_u32_f32_e32 v6, v6
	v_readfirstlane_b32 s12, v19
	v_readfirstlane_b32 s6, v6
	s_mul_i32 s7, s10, s12
	s_mul_hi_u32 s14, s10, s6
	s_mul_i32 s13, s11, s6
	s_add_i32 s7, s14, s7
	s_mul_i32 s15, s10, s6
	s_add_i32 s7, s7, s13
	s_mul_i32 s14, s6, s7
	s_mul_hi_u32 s16, s6, s15
	s_mul_hi_u32 s13, s6, s7
	s_add_u32 s14, s16, s14
	s_addc_u32 s13, 0, s13
	s_mul_hi_u32 s17, s12, s15
	s_mul_i32 s15, s12, s15
	s_add_u32 s14, s14, s15
	s_mul_hi_u32 s16, s12, s7
	s_addc_u32 s13, s13, s17
	s_addc_u32 s14, s16, 0
	s_mul_i32 s7, s12, s7
	s_add_u32 s7, s13, s7
	s_addc_u32 s13, 0, s14
	s_add_u32 s14, s6, s7
	s_cselect_b64 s[6:7], -1, 0
	s_cmp_lg_u64 s[6:7], 0
	s_addc_u32 s12, s12, s13
	s_mul_i32 s6, s10, s12
	s_mul_hi_u32 s7, s10, s14
	s_add_i32 s6, s7, s6
	s_mul_i32 s11, s11, s14
	s_add_i32 s6, s6, s11
	s_mul_i32 s10, s10, s14
	s_mul_hi_u32 s11, s12, s10
	s_mul_i32 s13, s12, s10
	s_mul_i32 s16, s14, s6
	s_mul_hi_u32 s10, s14, s10
	s_mul_hi_u32 s15, s14, s6
	s_add_u32 s10, s10, s16
	s_addc_u32 s15, 0, s15
	s_add_u32 s10, s10, s13
	s_mul_hi_u32 s7, s12, s6
	s_addc_u32 s10, s15, s11
	s_addc_u32 s7, s7, 0
	s_mul_i32 s6, s12, s6
	s_add_u32 s6, s10, s6
	s_addc_u32 s10, 0, s7
	s_add_u32 s11, s14, s6
	s_cselect_b64 s[6:7], -1, 0
	s_cmp_lg_u64 s[6:7], 0
	s_addc_u32 s10, s12, s10
	v_mad_u64_u32 v[19:20], s[6:7], v17, s10, 0
	v_mul_hi_u32 v6, v17, s11
	v_mad_u64_u32 v[21:22], s[6:7], v18, s10, 0
	v_add_co_u32_e32 v6, vcc, v6, v19
	v_addc_co_u32_e32 v24, vcc, 0, v20, vcc
	v_mad_u64_u32 v[19:20], s[6:7], v18, s11, 0
	v_add_co_u32_e32 v6, vcc, v6, v19
	v_addc_co_u32_e32 v6, vcc, v24, v20, vcc
	v_addc_co_u32_e32 v19, vcc, 0, v22, vcc
	v_add_co_u32_e32 v6, vcc, v6, v21
	v_addc_co_u32_e32 v21, vcc, 0, v19, vcc
	v_mul_lo_u32 v22, s72, v6
	v_mul_lo_u32 v24, s73, v21
	v_mad_u64_u32 v[19:20], s[6:7], s73, v6, 0
	v_add3_u32 v20, v20, v24, v22
	v_sub_u32_e32 v22, v18, v20
	v_mov_b32_e32 v24, s72
	v_sub_co_u32_e32 v17, vcc, v17, v19
	v_subb_co_u32_e64 v19, s[6:7], v22, v24, vcc
	v_subrev_co_u32_e64 v22, s[6:7], s73, v17
	v_subbrev_co_u32_e64 v19, s[6:7], 0, v19, s[6:7]
	v_cmp_le_u32_e64 s[6:7], s72, v19
	v_cndmask_b32_e64 v24, 0, -1, s[6:7]
	v_cmp_le_u32_e64 s[6:7], s73, v22
	v_cndmask_b32_e64 v22, 0, -1, s[6:7]
	v_cmp_eq_u32_e64 s[6:7], s72, v19
	v_cndmask_b32_e64 v19, v24, v22, s[6:7]
	v_add_co_u32_e64 v22, s[6:7], 2, v6
	v_subb_co_u32_e32 v18, vcc, v18, v20, vcc
	v_addc_co_u32_e64 v24, s[6:7], 0, v21, s[6:7]
	v_cmp_le_u32_e32 vcc, s72, v18
	v_add_co_u32_e64 v25, s[6:7], 1, v6
	v_cndmask_b32_e64 v20, 0, -1, vcc
	v_cmp_le_u32_e32 vcc, s73, v17
	v_addc_co_u32_e64 v26, s[6:7], 0, v21, s[6:7]
	v_cndmask_b32_e64 v17, 0, -1, vcc
	v_cmp_eq_u32_e32 vcc, s72, v18
	v_cmp_ne_u32_e64 s[6:7], 0, v19
	v_cndmask_b32_e32 v17, v20, v17, vcc
	v_cndmask_b32_e64 v19, v26, v24, s[6:7]
	v_cmp_ne_u32_e32 vcc, 0, v17
	v_cndmask_b32_e64 v17, v25, v22, s[6:7]
	v_cndmask_b32_e32 v20, v21, v19, vcc
	v_cndmask_b32_e32 v19, v6, v17, vcc
                                        ; implicit-def: $vgpr17
.LBB13_11:                              ;   in Loop: Header=BB13_9 Depth=2
	s_andn2_saveexec_b64 s[6:7], s[8:9]
	s_cbranch_execz .LBB13_13
; %bb.12:                               ;   in Loop: Header=BB13_9 Depth=2
	v_cvt_f32_u32_e32 v6, s73
	s_sub_i32 s8, 0, s73
	v_mov_b32_e32 v20, v5
	v_rcp_iflag_f32_e32 v6, v6
	v_mul_f32_e32 v6, 0x4f7ffffe, v6
	v_cvt_u32_f32_e32 v6, v6
	v_mul_lo_u32 v18, s8, v6
	v_mul_hi_u32 v18, v6, v18
	v_add_u32_e32 v6, v6, v18
	v_mul_hi_u32 v6, v17, v6
	v_mul_lo_u32 v18, v6, s73
	v_add_u32_e32 v19, 1, v6
	v_sub_u32_e32 v17, v17, v18
	v_subrev_u32_e32 v18, s73, v17
	v_cmp_le_u32_e32 vcc, s73, v17
	v_cndmask_b32_e32 v17, v17, v18, vcc
	v_cndmask_b32_e32 v6, v6, v19, vcc
	v_add_u32_e32 v18, 1, v6
	v_cmp_le_u32_e32 vcc, s73, v17
	v_cndmask_b32_e32 v19, v6, v18, vcc
.LBB13_13:                              ;   in Loop: Header=BB13_9 Depth=2
	s_or_b64 exec, exec, s[6:7]
	v_mad_i64_i32 v[21:22], s[6:7], s47, v43, 0
	v_mov_b32_e32 v18, s75
	v_ashrrev_i32_e32 v6, 31, v43
	v_add_co_u32_e32 v17, vcc, s74, v21
	v_addc_co_u32_e32 v18, vcc, v18, v22, vcc
	s_mov_b64 s[6:7], 0
.LBB13_14:                              ;   Parent Loop BB13_6 Depth=1
                                        ;     Parent Loop BB13_9 Depth=2
                                        ; =>    This Inner Loop Header: Depth=3
	v_mov_b32_e32 v24, s71
	v_add_co_u32_e32 v17, vcc, s80, v17
	v_addc_co_u32_e32 v18, vcc, v18, v24, vcc
	v_cmp_lt_i64_e32 vcc, -1, v[17:18]
	s_or_b64 s[6:7], vcc, s[6:7]
	s_andn2_b64 exec, exec, s[6:7]
	s_cbranch_execnz .LBB13_14
; %bb.15:                               ;   in Loop: Header=BB13_9 Depth=2
	s_or_b64 exec, exec, s[6:7]
	v_mov_b32_e32 v24, s67
	v_subrev_co_u32_e32 v21, vcc, s68, v21
	v_subb_co_u32_e32 v22, vcc, v22, v24, vcc
	v_mov_b32_e32 v24, s70
	v_add_co_u32_e32 v21, vcc, s69, v21
	v_addc_co_u32_e32 v22, vcc, v22, v24, vcc
	v_add_co_u32_e32 v19, vcc, v23, v19
	v_addc_co_u32_e32 v20, vcc, 0, v20, vcc
	v_mul_lo_u32 v24, v19, s31
	v_mul_lo_u32 v25, v20, s30
	v_mad_u64_u32 v[13:14], s[6:7], v19, s30, v[13:14]
	v_cmp_gt_i64_e32 vcc, s[24:25], v[21:22]
	v_mov_b32_e32 v23, s25
	v_mov_b32_e32 v19, s24
	v_cndmask_b32_e32 v20, v23, v22, vcc
	v_cndmask_b32_e32 v19, v19, v21, vcc
	v_add3_u32 v14, v25, v14, v24
	s_mov_b64 s[6:7], -1
	s_and_b64 vcc, exec, s[34:35]
	s_cbranch_vccnz .LBB13_18
; %bb.16:                               ;   in Loop: Header=BB13_9 Depth=2
	s_and_b64 vcc, exec, s[6:7]
	s_cbranch_vccnz .LBB13_64
.LBB13_17:                              ;   in Loop: Header=BB13_9 Depth=2
	s_and_saveexec_b64 s[6:7], s[4:5]
	s_cbranch_execz .LBB13_8
	s_branch .LBB13_76
.LBB13_18:                              ;   in Loop: Header=BB13_9 Depth=2
	v_ashrrev_i32_e32 v28, 31, v13
	v_mul_lo_u32 v23, s41, v13
	v_mul_lo_u32 v24, s40, v28
	v_mad_u64_u32 v[21:22], s[6:7], s40, v13, 0
	v_mov_b32_e32 v27, v13
	v_cmp_le_i64_e32 vcc, v[15:16], v[27:28]
	v_add3_u32 v22, v22, v24, v23
	v_lshlrev_b64 v[23:24], 1, v[21:22]
	v_ashrrev_i32_e32 v22, 31, v17
	v_mov_b32_e32 v21, v17
	v_cmp_le_i64_e64 s[10:11], v[19:20], v[21:22]
	v_add_co_u32_e64 v29, s[6:7], v36, v23
	v_mul_lo_u32 v49, s43, v21
	v_mul_lo_u32 v53, s42, v22
	v_addc_co_u32_e64 v30, s[6:7], v37, v24, s[6:7]
	s_or_b64 s[6:7], vcc, s[10:11]
	s_nor_b64 s[6:7], s[6:7], s[2:3]
	v_mov_b32_e32 v44, 0
	v_mov_b32_e32 v48, 0
	s_and_saveexec_b64 s[8:9], s[6:7]
	s_cbranch_execz .LBB13_20
; %bb.19:                               ;   in Loop: Header=BB13_9 Depth=2
	v_mad_u64_u32 v[23:24], s[6:7], s42, v21, 0
	v_add3_u32 v24, v24, v53, v49
	v_lshlrev_b64 v[23:24], 1, v[23:24]
	v_add_co_u32_e64 v23, s[6:7], v29, v23
	v_addc_co_u32_e64 v24, s[6:7], v30, v24, s[6:7]
	global_load_ushort v48, v[23:24], off
.LBB13_20:                              ;   in Loop: Header=BB13_9 Depth=2
	s_or_b64 exec, exec, s[8:9]
	v_add_u32_e32 v23, s51, v17
	v_ashrrev_i32_e32 v24, 31, v23
	v_cmp_le_i64_e64 s[12:13], v[19:20], v[23:24]
	v_mul_lo_u32 v54, s43, v23
	v_mul_lo_u32 v55, s42, v24
	s_or_b64 s[6:7], vcc, s[12:13]
	s_nor_b64 s[6:7], s[6:7], s[2:3]
	s_and_saveexec_b64 s[8:9], s[6:7]
	s_cbranch_execz .LBB13_22
; %bb.21:                               ;   in Loop: Header=BB13_9 Depth=2
	v_mad_u64_u32 v[25:26], s[6:7], s42, v23, 0
	v_add3_u32 v26, v26, v55, v54
	v_lshlrev_b64 v[25:26], 1, v[25:26]
	v_add_co_u32_e64 v25, s[6:7], v29, v25
	v_addc_co_u32_e64 v26, s[6:7], v30, v26, s[6:7]
	global_load_ushort v44, v[25:26], off
.LBB13_22:                              ;   in Loop: Header=BB13_9 Depth=2
	s_or_b64 exec, exec, s[8:9]
	v_add_u32_e32 v25, s51, v23
	v_ashrrev_i32_e32 v26, 31, v25
	v_cmp_le_i64_e64 s[14:15], v[19:20], v[25:26]
	v_mul_lo_u32 v56, s43, v25
	v_mul_lo_u32 v57, s42, v26
	s_or_b64 s[6:7], vcc, s[14:15]
	s_nor_b64 s[6:7], s[6:7], s[2:3]
	v_mov_b32_e32 v45, 0
	v_mov_b32_e32 v50, 0
	s_and_saveexec_b64 s[8:9], s[6:7]
	s_cbranch_execz .LBB13_24
; %bb.23:                               ;   in Loop: Header=BB13_9 Depth=2
	v_mad_u64_u32 v[31:32], s[6:7], s42, v25, 0
	v_add3_u32 v32, v32, v57, v56
	v_lshlrev_b64 v[31:32], 1, v[31:32]
	v_add_co_u32_e64 v29, s[6:7], v29, v31
	v_addc_co_u32_e64 v30, s[6:7], v30, v32, s[6:7]
	global_load_ushort v50, v[29:30], off
.LBB13_24:                              ;   in Loop: Header=BB13_9 Depth=2
	s_or_b64 exec, exec, s[8:9]
	v_add_u32_e32 v31, s50, v13
	v_ashrrev_i32_e32 v32, 31, v31
	v_mul_lo_u32 v46, s41, v31
	v_mad_u64_u32 v[29:30], s[6:7], s40, v31, 0
	v_mul_lo_u32 v47, s40, v32
	v_cmp_le_i64_e64 s[8:9], v[15:16], v[31:32]
	v_add3_u32 v30, v30, v47, v46
	v_lshlrev_b64 v[29:30], 1, v[29:30]
	v_add_co_u32_e64 v29, s[6:7], v36, v29
	v_addc_co_u32_e64 v30, s[6:7], v37, v30, s[6:7]
	s_or_b64 s[6:7], s[8:9], s[10:11]
	s_nor_b64 s[6:7], s[6:7], s[2:3]
	s_and_saveexec_b64 s[16:17], s[6:7]
	s_cbranch_execz .LBB13_26
; %bb.25:                               ;   in Loop: Header=BB13_9 Depth=2
	v_mad_u64_u32 v[45:46], s[6:7], s42, v21, 0
	v_add3_u32 v46, v46, v53, v49
	v_lshlrev_b64 v[45:46], 1, v[45:46]
	v_add_co_u32_e64 v45, s[6:7], v29, v45
	v_addc_co_u32_e64 v46, s[6:7], v30, v46, s[6:7]
	global_load_ushort v45, v[45:46], off
.LBB13_26:                              ;   in Loop: Header=BB13_9 Depth=2
	s_or_b64 exec, exec, s[16:17]
	s_or_b64 s[6:7], s[8:9], s[12:13]
	s_nor_b64 s[6:7], s[6:7], s[2:3]
	v_mov_b32_e32 v46, 0
	v_mov_b32_e32 v51, 0
	s_and_saveexec_b64 s[16:17], s[6:7]
	s_cbranch_execz .LBB13_28
; %bb.27:                               ;   in Loop: Header=BB13_9 Depth=2
	v_mad_u64_u32 v[51:52], s[6:7], s42, v23, 0
	v_add3_u32 v52, v52, v55, v54
	v_lshlrev_b64 v[51:52], 1, v[51:52]
	v_add_co_u32_e64 v51, s[6:7], v29, v51
	v_addc_co_u32_e64 v52, s[6:7], v30, v52, s[6:7]
	global_load_ushort v51, v[51:52], off
.LBB13_28:                              ;   in Loop: Header=BB13_9 Depth=2
	s_or_b64 exec, exec, s[16:17]
	s_or_b64 s[6:7], s[8:9], s[14:15]
	s_nor_b64 s[6:7], s[6:7], s[2:3]
	s_and_saveexec_b64 s[16:17], s[6:7]
	s_cbranch_execz .LBB13_30
; %bb.29:                               ;   in Loop: Header=BB13_9 Depth=2
	v_mad_u64_u32 v[46:47], s[6:7], s42, v25, 0
	v_add3_u32 v47, v47, v57, v56
	v_lshlrev_b64 v[46:47], 1, v[46:47]
	v_add_co_u32_e64 v29, s[6:7], v29, v46
	v_addc_co_u32_e64 v30, s[6:7], v30, v47, s[6:7]
	global_load_ushort v46, v[29:30], off
.LBB13_30:                              ;   in Loop: Header=BB13_9 Depth=2
	s_or_b64 exec, exec, s[16:17]
	v_add_u32_e32 v29, s50, v31
	v_ashrrev_i32_e32 v30, 31, v29
	v_mul_lo_u32 v47, s41, v29
	v_mad_u64_u32 v[58:59], s[6:7], s40, v29, 0
	v_mul_lo_u32 v52, s40, v30
	v_cmp_le_i64_e64 s[6:7], v[15:16], v[29:30]
	v_add3_u32 v59, v59, v52, v47
	v_lshlrev_b64 v[58:59], 1, v[58:59]
	v_mov_b32_e32 v47, 0
	v_add_co_u32_e64 v58, s[16:17], v36, v58
	v_addc_co_u32_e64 v59, s[16:17], v37, v59, s[16:17]
	s_or_b64 s[16:17], s[6:7], s[10:11]
	s_nor_b64 s[16:17], s[16:17], s[2:3]
	v_mov_b32_e32 v52, 0
	s_and_saveexec_b64 s[56:57], s[16:17]
	s_cbranch_execz .LBB13_32
; %bb.31:                               ;   in Loop: Header=BB13_9 Depth=2
	v_mad_u64_u32 v[60:61], s[16:17], s42, v21, 0
	v_add3_u32 v61, v61, v53, v49
	v_lshlrev_b64 v[52:53], 1, v[60:61]
	v_add_co_u32_e64 v52, s[16:17], v58, v52
	v_addc_co_u32_e64 v53, s[16:17], v59, v53, s[16:17]
	global_load_ushort v52, v[52:53], off
.LBB13_32:                              ;   in Loop: Header=BB13_9 Depth=2
	s_or_b64 exec, exec, s[56:57]
	s_or_b64 s[16:17], s[6:7], s[12:13]
	s_nor_b64 s[16:17], s[16:17], s[2:3]
	s_and_saveexec_b64 s[56:57], s[16:17]
	s_cbranch_execz .LBB13_34
; %bb.33:                               ;   in Loop: Header=BB13_9 Depth=2
	v_mad_u64_u32 v[60:61], s[16:17], s42, v23, 0
	v_add3_u32 v61, v61, v55, v54
	v_lshlrev_b64 v[53:54], 1, v[60:61]
	v_add_co_u32_e64 v53, s[16:17], v58, v53
	v_addc_co_u32_e64 v54, s[16:17], v59, v54, s[16:17]
	global_load_ushort v47, v[53:54], off
.LBB13_34:                              ;   in Loop: Header=BB13_9 Depth=2
	s_or_b64 exec, exec, s[56:57]
	s_or_b64 s[16:17], s[6:7], s[14:15]
	s_nor_b64 s[16:17], s[16:17], s[2:3]
	v_mov_b32_e32 v49, 0
	s_and_saveexec_b64 s[56:57], s[16:17]
	s_cbranch_execz .LBB13_36
; %bb.35:                               ;   in Loop: Header=BB13_9 Depth=2
	v_mad_u64_u32 v[53:54], s[16:17], s42, v25, 0
	v_add3_u32 v54, v54, v57, v56
	v_lshlrev_b64 v[53:54], 1, v[53:54]
	v_add_co_u32_e64 v53, s[16:17], v58, v53
	v_addc_co_u32_e64 v54, s[16:17], v59, v54, s[16:17]
	global_load_ushort v49, v[53:54], off
.LBB13_36:                              ;   in Loop: Header=BB13_9 Depth=2
	s_or_b64 exec, exec, s[56:57]
	v_mul_lo_u32 v53, s25, v27
	v_mul_lo_u32 v54, s24, v28
	v_mad_u64_u32 v[27:28], s[16:17], s24, v27, 0
	s_or_b64 s[56:57], s[2:3], s[10:11]
	s_nor_b64 s[10:11], vcc, s[56:57]
	v_add3_u32 v28, v28, v54, v53
	s_and_saveexec_b64 s[58:59], s[10:11]
	s_cbranch_execz .LBB13_39
; %bb.37:                               ;   in Loop: Header=BB13_9 Depth=2
	ds_read_u16 v53, v39
	s_waitcnt vmcnt(0)
	v_lshlrev_b32_e32 v54, 16, v48
	v_cmp_u_f32_e64 s[16:17], v54, v54
	s_waitcnt lgkmcnt(0)
	v_lshlrev_b32_e32 v53, 16, v53
	v_cmp_gt_f32_e64 s[10:11], v54, v53
	s_or_b64 s[10:11], s[16:17], s[10:11]
	s_and_b64 exec, exec, s[10:11]
	s_cbranch_execz .LBB13_39
; %bb.38:                               ;   in Loop: Header=BB13_9 Depth=2
	v_add_co_u32_e64 v53, s[10:11], v27, v21
	v_addc_co_u32_e64 v54, s[10:11], v28, v22, s[10:11]
	ds_write_b16 v39, v48
	ds_write_b64 v0, v[53:54]
.LBB13_39:                              ;   in Loop: Header=BB13_9 Depth=2
	s_or_b64 exec, exec, s[58:59]
	s_or_b64 s[16:17], s[2:3], s[12:13]
	s_nor_b64 s[10:11], vcc, s[16:17]
	s_and_saveexec_b64 s[58:59], s[10:11]
	s_cbranch_execz .LBB13_42
; %bb.40:                               ;   in Loop: Header=BB13_9 Depth=2
	s_waitcnt vmcnt(0)
	ds_read_u16 v48, v39
	v_lshlrev_b32_e32 v53, 16, v44
	v_cmp_u_f32_e64 s[12:13], v53, v53
	s_waitcnt lgkmcnt(0)
	v_lshlrev_b32_e32 v48, 16, v48
	v_cmp_gt_f32_e64 s[10:11], v53, v48
	s_or_b64 s[10:11], s[12:13], s[10:11]
	s_and_b64 exec, exec, s[10:11]
	s_cbranch_execz .LBB13_42
; %bb.41:                               ;   in Loop: Header=BB13_9 Depth=2
	v_add_co_u32_e64 v53, s[10:11], v27, v23
	v_addc_co_u32_e64 v54, s[10:11], v28, v24, s[10:11]
	ds_write_b16 v39, v44
	ds_write_b64 v0, v[53:54]
.LBB13_42:                              ;   in Loop: Header=BB13_9 Depth=2
	s_or_b64 exec, exec, s[58:59]
	s_or_b64 s[12:13], s[2:3], s[14:15]
	s_nor_b64 s[10:11], vcc, s[12:13]
	s_and_saveexec_b64 s[14:15], s[10:11]
	s_cbranch_execz .LBB13_45
; %bb.43:                               ;   in Loop: Header=BB13_9 Depth=2
	s_waitcnt vmcnt(0)
	ds_read_u16 v44, v39
	v_lshlrev_b32_e32 v48, 16, v50
	v_cmp_u_f32_e64 s[10:11], v48, v48
	s_waitcnt lgkmcnt(0)
	v_lshlrev_b32_e32 v44, 16, v44
	v_cmp_gt_f32_e32 vcc, v48, v44
	s_or_b64 s[10:11], s[10:11], vcc
	s_and_b64 exec, exec, s[10:11]
	s_cbranch_execz .LBB13_45
; %bb.44:                               ;   in Loop: Header=BB13_9 Depth=2
	v_add_co_u32_e32 v27, vcc, v27, v25
	v_addc_co_u32_e32 v28, vcc, v28, v26, vcc
	ds_write_b16 v39, v50
	ds_write_b64 v0, v[27:28]
.LBB13_45:                              ;   in Loop: Header=BB13_9 Depth=2
	s_or_b64 exec, exec, s[14:15]
	s_waitcnt vmcnt(0)
	v_mul_lo_u32 v44, s25, v31
	v_mul_lo_u32 v32, s24, v32
	v_mad_u64_u32 v[27:28], s[10:11], s24, v31, 0
	s_nor_b64 s[10:11], s[8:9], s[56:57]
	v_add3_u32 v28, v28, v32, v44
	s_and_saveexec_b64 s[14:15], s[10:11]
	s_cbranch_execz .LBB13_48
; %bb.46:                               ;   in Loop: Header=BB13_9 Depth=2
	ds_read_u16 v31, v39
	v_lshlrev_b32_e32 v32, 16, v45
	v_cmp_u_f32_e64 s[10:11], v32, v32
	s_waitcnt lgkmcnt(0)
	v_lshlrev_b32_e32 v31, 16, v31
	v_cmp_gt_f32_e32 vcc, v32, v31
	s_or_b64 s[10:11], s[10:11], vcc
	s_and_b64 exec, exec, s[10:11]
	s_cbranch_execz .LBB13_48
; %bb.47:                               ;   in Loop: Header=BB13_9 Depth=2
	v_add_co_u32_e32 v31, vcc, v27, v21
	v_addc_co_u32_e32 v32, vcc, v28, v22, vcc
	ds_write_b16 v39, v45
	ds_write_b64 v0, v[31:32]
.LBB13_48:                              ;   in Loop: Header=BB13_9 Depth=2
	s_or_b64 exec, exec, s[14:15]
	s_nor_b64 s[10:11], s[8:9], s[16:17]
	s_and_saveexec_b64 s[14:15], s[10:11]
	s_cbranch_execz .LBB13_51
; %bb.49:                               ;   in Loop: Header=BB13_9 Depth=2
	ds_read_u16 v31, v39
	v_lshlrev_b32_e32 v32, 16, v51
	v_cmp_u_f32_e64 s[10:11], v32, v32
	s_waitcnt lgkmcnt(0)
	v_lshlrev_b32_e32 v31, 16, v31
	v_cmp_gt_f32_e32 vcc, v32, v31
	s_or_b64 s[10:11], s[10:11], vcc
	s_and_b64 exec, exec, s[10:11]
	s_cbranch_execz .LBB13_51
; %bb.50:                               ;   in Loop: Header=BB13_9 Depth=2
	v_add_co_u32_e32 v31, vcc, v27, v23
	v_addc_co_u32_e32 v32, vcc, v28, v24, vcc
	ds_write_b16 v39, v51
	ds_write_b64 v0, v[31:32]
.LBB13_51:                              ;   in Loop: Header=BB13_9 Depth=2
	s_or_b64 exec, exec, s[14:15]
	s_nor_b64 s[8:9], s[8:9], s[12:13]
	s_and_saveexec_b64 s[10:11], s[8:9]
	s_cbranch_execz .LBB13_54
; %bb.52:                               ;   in Loop: Header=BB13_9 Depth=2
	ds_read_u16 v31, v39
	v_lshlrev_b32_e32 v32, 16, v46
	v_cmp_u_f32_e64 s[8:9], v32, v32
	s_waitcnt lgkmcnt(0)
	v_lshlrev_b32_e32 v31, 16, v31
	v_cmp_gt_f32_e32 vcc, v32, v31
	s_or_b64 s[8:9], s[8:9], vcc
	s_and_b64 exec, exec, s[8:9]
	s_cbranch_execz .LBB13_54
; %bb.53:                               ;   in Loop: Header=BB13_9 Depth=2
	v_add_co_u32_e32 v27, vcc, v27, v25
	v_addc_co_u32_e32 v28, vcc, v28, v26, vcc
	ds_write_b16 v39, v46
	ds_write_b64 v0, v[27:28]
.LBB13_54:                              ;   in Loop: Header=BB13_9 Depth=2
	s_or_b64 exec, exec, s[10:11]
	v_mul_lo_u32 v31, s25, v29
	v_mul_lo_u32 v30, s24, v30
	v_mad_u64_u32 v[27:28], s[8:9], s24, v29, 0
	s_nor_b64 s[8:9], s[6:7], s[56:57]
	v_add3_u32 v28, v28, v30, v31
	s_and_saveexec_b64 s[10:11], s[8:9]
	s_cbranch_execz .LBB13_57
; %bb.55:                               ;   in Loop: Header=BB13_9 Depth=2
	ds_read_u16 v29, v39
	v_lshlrev_b32_e32 v30, 16, v52
	v_cmp_u_f32_e64 s[8:9], v30, v30
	s_waitcnt lgkmcnt(0)
	v_lshlrev_b32_e32 v29, 16, v29
	v_cmp_gt_f32_e32 vcc, v30, v29
	s_or_b64 s[8:9], s[8:9], vcc
	s_and_b64 exec, exec, s[8:9]
	s_cbranch_execz .LBB13_57
; %bb.56:                               ;   in Loop: Header=BB13_9 Depth=2
	v_add_co_u32_e32 v21, vcc, v27, v21
	v_addc_co_u32_e32 v22, vcc, v28, v22, vcc
	ds_write_b16 v39, v52
	ds_write_b64 v0, v[21:22]
.LBB13_57:                              ;   in Loop: Header=BB13_9 Depth=2
	s_or_b64 exec, exec, s[10:11]
	s_nor_b64 s[8:9], s[6:7], s[16:17]
	s_and_saveexec_b64 s[10:11], s[8:9]
	s_cbranch_execz .LBB13_60
; %bb.58:                               ;   in Loop: Header=BB13_9 Depth=2
	ds_read_u16 v21, v39
	v_lshlrev_b32_e32 v22, 16, v47
	v_cmp_u_f32_e64 s[8:9], v22, v22
	s_waitcnt lgkmcnt(0)
	v_lshlrev_b32_e32 v21, 16, v21
	v_cmp_gt_f32_e32 vcc, v22, v21
	s_or_b64 s[8:9], s[8:9], vcc
	s_and_b64 exec, exec, s[8:9]
	s_cbranch_execz .LBB13_60
; %bb.59:                               ;   in Loop: Header=BB13_9 Depth=2
	v_add_co_u32_e32 v21, vcc, v27, v23
	v_addc_co_u32_e32 v22, vcc, v28, v24, vcc
	ds_write_b16 v39, v47
	ds_write_b64 v0, v[21:22]
.LBB13_60:                              ;   in Loop: Header=BB13_9 Depth=2
	s_or_b64 exec, exec, s[10:11]
	s_nor_b64 s[6:7], s[6:7], s[12:13]
	s_and_saveexec_b64 s[8:9], s[6:7]
	s_cbranch_execz .LBB13_63
; %bb.61:                               ;   in Loop: Header=BB13_9 Depth=2
	ds_read_u16 v21, v39
	v_lshlrev_b32_e32 v22, 16, v49
	v_cmp_u_f32_e64 s[6:7], v22, v22
	s_waitcnt lgkmcnt(0)
	v_lshlrev_b32_e32 v21, 16, v21
	v_cmp_gt_f32_e32 vcc, v22, v21
	s_or_b64 s[6:7], s[6:7], vcc
	s_and_b64 exec, exec, s[6:7]
	s_cbranch_execz .LBB13_63
; %bb.62:                               ;   in Loop: Header=BB13_9 Depth=2
	v_add_co_u32_e32 v21, vcc, v27, v25
	v_addc_co_u32_e32 v22, vcc, v28, v26, vcc
	ds_write_b16 v39, v49
	ds_write_b64 v0, v[21:22]
.LBB13_63:                              ;   in Loop: Header=BB13_9 Depth=2
	s_or_b64 exec, exec, s[8:9]
	s_branch .LBB13_17
.LBB13_64:                              ;   in Loop: Header=BB13_9 Depth=2
	v_cmp_lt_i64_e32 vcc, v[13:14], v[15:16]
	s_and_saveexec_b64 s[10:11], vcc
	s_cbranch_execz .LBB13_75
; %bb.65:                               ;   in Loop: Header=BB13_9 Depth=2
	v_cmp_lt_i64_e32 vcc, v[17:18], v[19:20]
	v_mov_b32_e32 v22, v14
	s_mov_b64 s[12:13], 0
	v_mov_b32_e32 v21, v13
	s_branch .LBB13_67
.LBB13_66:                              ;   in Loop: Header=BB13_67 Depth=3
	s_or_b64 exec, exec, s[14:15]
	v_mov_b32_e32 v23, s31
	v_add_co_u32_e64 v21, s[6:7], s30, v21
	v_addc_co_u32_e64 v22, s[6:7], v22, v23, s[6:7]
	v_cmp_ge_i64_e64 s[6:7], v[21:22], v[15:16]
	s_or_b64 s[12:13], s[6:7], s[12:13]
	s_andn2_b64 exec, exec, s[12:13]
	s_cbranch_execz .LBB13_75
.LBB13_67:                              ;   Parent Loop BB13_6 Depth=1
                                        ;     Parent Loop BB13_9 Depth=2
                                        ; =>    This Loop Header: Depth=3
                                        ;         Child Loop BB13_70 Depth 4
                                        ;           Child Loop BB13_73 Depth 5
	s_and_saveexec_b64 s[14:15], vcc
	s_cbranch_execz .LBB13_66
; %bb.68:                               ;   in Loop: Header=BB13_67 Depth=3
	v_mul_lo_u32 v25, v22, s40
	v_mul_lo_u32 v26, v21, s41
	v_mad_u64_u32 v[23:24], s[6:7], v21, s40, 0
	v_mul_lo_u32 v28, v22, s24
	v_mul_lo_u32 v29, v21, s25
	v_add3_u32 v24, v24, v26, v25
	v_lshlrev_b64 v[25:26], 1, v[23:24]
	v_mad_u64_u32 v[23:24], s[6:7], v21, s24, 0
	v_mov_b32_e32 v27, s62
	v_add_co_u32_e64 v44, s[6:7], s61, v25
	v_addc_co_u32_e64 v45, s[6:7], v27, v26, s[6:7]
	v_mov_b32_e32 v26, v18
	v_add3_u32 v24, v24, v29, v28
	s_mov_b64 s[16:17], 0
	v_mov_b32_e32 v25, v17
	s_branch .LBB13_70
.LBB13_69:                              ;   in Loop: Header=BB13_70 Depth=4
	s_or_b64 exec, exec, s[56:57]
	v_mov_b32_e32 v27, s71
	v_add_co_u32_e64 v25, s[6:7], s80, v25
	v_addc_co_u32_e64 v26, s[6:7], v26, v27, s[6:7]
	v_cmp_ge_i64_e64 s[6:7], v[25:26], v[19:20]
	s_or_b64 s[16:17], s[6:7], s[16:17]
	s_andn2_b64 exec, exec, s[16:17]
	s_cbranch_execz .LBB13_66
.LBB13_70:                              ;   Parent Loop BB13_6 Depth=1
                                        ;     Parent Loop BB13_9 Depth=2
                                        ;       Parent Loop BB13_67 Depth=3
                                        ; =>      This Loop Header: Depth=4
                                        ;           Child Loop BB13_73 Depth 5
	s_and_saveexec_b64 s[56:57], s[4:5]
	s_cbranch_execz .LBB13_69
; %bb.71:                               ;   in Loop: Header=BB13_70 Depth=4
	v_mul_lo_u32 v29, v26, s42
	v_mul_lo_u32 v30, v25, s43
	v_mad_u64_u32 v[27:28], s[6:7], v25, s42, 0
	v_mov_b32_e32 v32, v2
	s_mov_b64 s[58:59], 0
	v_add3_u32 v28, v28, v30, v29
	v_lshlrev_b64 v[27:28], 1, v[27:28]
	v_mov_b32_e32 v30, v4
	v_add_co_u32_e64 v46, s[6:7], v44, v27
	v_addc_co_u32_e64 v47, s[6:7], v45, v28, s[6:7]
	v_add_co_u32_e64 v27, s[6:7], v25, v23
	v_addc_co_u32_e64 v28, s[6:7], v26, v24, s[6:7]
	v_mov_b32_e32 v48, v41
	v_mov_b32_e32 v49, v40
	;; [unrolled: 1-line block ×4, first 2 shown]
	s_branch .LBB13_73
.LBB13_72:                              ;   in Loop: Header=BB13_73 Depth=5
	s_or_b64 exec, exec, s[6:7]
	v_mov_b32_e32 v50, s29
	v_add_co_u32_e64 v31, s[6:7], s28, v31
	v_addc_co_u32_e64 v32, s[6:7], v32, v50, s[6:7]
	v_mov_b32_e32 v50, s76
	v_add_co_u32_e64 v29, s[6:7], s77, v29
	v_addc_co_u32_e64 v30, s[6:7], v30, v50, s[6:7]
	v_cmp_le_i64_e64 s[6:7], s[20:21], v[31:32]
	v_add_u32_e32 v49, s78, v49
	s_or_b64 s[58:59], s[6:7], s[58:59]
	v_add_u32_e32 v48, s79, v48
	s_andn2_b64 exec, exec, s[58:59]
	s_cbranch_execz .LBB13_69
.LBB13_73:                              ;   Parent Loop BB13_6 Depth=1
                                        ;     Parent Loop BB13_9 Depth=2
                                        ;       Parent Loop BB13_67 Depth=3
                                        ;         Parent Loop BB13_70 Depth=4
                                        ; =>        This Inner Loop Header: Depth=5
	v_lshlrev_b64 v[50:51], 1, v[29:30]
	v_add_co_u32_e64 v50, s[6:7], v46, v50
	v_addc_co_u32_e64 v51, s[6:7], v47, v51, s[6:7]
	global_load_ushort v50, v[50:51], off
	ds_read_u16 v51, v49
	s_waitcnt lgkmcnt(0)
	v_lshlrev_b32_e32 v51, 16, v51
	s_waitcnt vmcnt(0)
	v_lshlrev_b32_e32 v52, 16, v50
	v_cmp_gt_f32_e64 s[6:7], v52, v51
	v_cmp_u_f32_e64 s[8:9], v52, v52
	s_or_b64 s[8:9], s[8:9], s[6:7]
	s_and_saveexec_b64 s[6:7], s[8:9]
	s_cbranch_execz .LBB13_72
; %bb.74:                               ;   in Loop: Header=BB13_73 Depth=5
	ds_write_b16 v49, v50
	ds_write_b64 v48, v[27:28]
	s_branch .LBB13_72
.LBB13_75:                              ;   in Loop: Header=BB13_9 Depth=2
	s_or_b64 exec, exec, s[10:11]
	s_and_saveexec_b64 s[6:7], s[4:5]
	s_cbranch_execz .LBB13_8
.LBB13_76:                              ;   in Loop: Header=BB13_9 Depth=2
	v_add_co_u32_e32 v19, vcc, v11, v43
	v_addc_co_u32_e32 v20, vcc, v12, v6, vcc
	v_lshlrev_b64 v[17:18], 3, v[19:20]
	v_mov_b32_e32 v6, s27
	v_add_co_u32_e32 v17, vcc, s26, v17
	v_lshlrev_b64 v[19:20], 1, v[19:20]
	v_addc_co_u32_e32 v6, vcc, v6, v18, vcc
	v_mov_b32_e32 v22, s37
	v_add_co_u32_e32 v19, vcc, s36, v19
	v_addc_co_u32_e32 v20, vcc, v22, v20, vcc
	v_mul_lo_u32 v6, s20, v6
	v_mul_lo_u32 v21, s21, v17
	v_mad_u64_u32 v[17:18], s[8:9], s20, v17, v[7:8]
	v_mul_lo_u32 v22, s20, v20
	v_mul_lo_u32 v23, s21, v19
	v_mad_u64_u32 v[19:20], s[8:9], s20, v19, v[9:10]
	v_add3_u32 v18, v21, v18, v6
	s_mov_b64 s[8:9], 0
	v_add3_u32 v20, v23, v20, v22
	v_mov_b32_e32 v22, v2
	v_mov_b32_e32 v23, v41
	;; [unrolled: 1-line block ×4, first 2 shown]
.LBB13_77:                              ;   Parent Loop BB13_6 Depth=1
                                        ;     Parent Loop BB13_9 Depth=2
                                        ; =>    This Inner Loop Header: Depth=3
	ds_read_u16 v27, v24
	ds_read_b64 v[25:26], v23
	v_mov_b32_e32 v28, s29
	v_add_co_u32_e32 v21, vcc, s28, v21
	v_addc_co_u32_e32 v22, vcc, v22, v28, vcc
	v_cmp_le_i64_e32 vcc, s[20:21], v[21:22]
	v_mov_b32_e32 v6, v5
	ds_write_b16 v24, v42
	v_mov_b32_e32 v29, s45
	ds_write_b64 v23, v[5:6]
	s_or_b64 s[8:9], vcc, s[8:9]
	s_waitcnt lgkmcnt(3)
	global_store_short v[19:20], v27, off
	s_waitcnt lgkmcnt(2)
	global_store_dwordx2 v[17:18], v[25:26], off
	v_add_co_u32_e32 v17, vcc, s44, v17
	v_addc_co_u32_e32 v18, vcc, v18, v29, vcc
	v_mov_b32_e32 v30, s49
	v_add_co_u32_e32 v19, vcc, s48, v19
	v_add_u32_e32 v24, s78, v24
	v_add_u32_e32 v23, s79, v23
	v_addc_co_u32_e32 v20, vcc, v20, v30, vcc
	s_andn2_b64 exec, exec, s[8:9]
	s_cbranch_execnz .LBB13_77
	s_branch .LBB13_8
.LBB13_78:
	s_endpgm
	.section	.rodata,"a",@progbits
	.p2align	6, 0x0
	.amdhsa_kernel _ZN2at6native12_GLOBAL__N_121max_pool_forward_nhwcIN3c108BFloat16ElEEvPKT_iT0_S8_S8_S8_S8_iiiiiiiiS8_S8_S8_S8_iiPS5_Pl
		.amdhsa_group_segment_fixed_size 0
		.amdhsa_private_segment_fixed_size 0
		.amdhsa_kernarg_size 400
		.amdhsa_user_sgpr_count 6
		.amdhsa_user_sgpr_private_segment_buffer 1
		.amdhsa_user_sgpr_dispatch_ptr 0
		.amdhsa_user_sgpr_queue_ptr 0
		.amdhsa_user_sgpr_kernarg_segment_ptr 1
		.amdhsa_user_sgpr_dispatch_id 0
		.amdhsa_user_sgpr_flat_scratch_init 0
		.amdhsa_user_sgpr_private_segment_size 0
		.amdhsa_uses_dynamic_stack 0
		.amdhsa_system_sgpr_private_segment_wavefront_offset 0
		.amdhsa_system_sgpr_workgroup_id_x 1
		.amdhsa_system_sgpr_workgroup_id_y 1
		.amdhsa_system_sgpr_workgroup_id_z 1
		.amdhsa_system_sgpr_workgroup_info 0
		.amdhsa_system_vgpr_workitem_id 2
		.amdhsa_next_free_vgpr 62
		.amdhsa_next_free_sgpr 81
		.amdhsa_reserve_vcc 1
		.amdhsa_reserve_flat_scratch 0
		.amdhsa_float_round_mode_32 0
		.amdhsa_float_round_mode_16_64 0
		.amdhsa_float_denorm_mode_32 3
		.amdhsa_float_denorm_mode_16_64 3
		.amdhsa_dx10_clamp 1
		.amdhsa_ieee_mode 1
		.amdhsa_fp16_overflow 0
		.amdhsa_exception_fp_ieee_invalid_op 0
		.amdhsa_exception_fp_denorm_src 0
		.amdhsa_exception_fp_ieee_div_zero 0
		.amdhsa_exception_fp_ieee_overflow 0
		.amdhsa_exception_fp_ieee_underflow 0
		.amdhsa_exception_fp_ieee_inexact 0
		.amdhsa_exception_int_div_zero 0
	.end_amdhsa_kernel
	.section	.text._ZN2at6native12_GLOBAL__N_121max_pool_forward_nhwcIN3c108BFloat16ElEEvPKT_iT0_S8_S8_S8_S8_iiiiiiiiS8_S8_S8_S8_iiPS5_Pl,"axG",@progbits,_ZN2at6native12_GLOBAL__N_121max_pool_forward_nhwcIN3c108BFloat16ElEEvPKT_iT0_S8_S8_S8_S8_iiiiiiiiS8_S8_S8_S8_iiPS5_Pl,comdat
.Lfunc_end13:
	.size	_ZN2at6native12_GLOBAL__N_121max_pool_forward_nhwcIN3c108BFloat16ElEEvPKT_iT0_S8_S8_S8_S8_iiiiiiiiS8_S8_S8_S8_iiPS5_Pl, .Lfunc_end13-_ZN2at6native12_GLOBAL__N_121max_pool_forward_nhwcIN3c108BFloat16ElEEvPKT_iT0_S8_S8_S8_S8_iiiiiiiiS8_S8_S8_S8_iiPS5_Pl
                                        ; -- End function
	.set _ZN2at6native12_GLOBAL__N_121max_pool_forward_nhwcIN3c108BFloat16ElEEvPKT_iT0_S8_S8_S8_S8_iiiiiiiiS8_S8_S8_S8_iiPS5_Pl.num_vgpr, 62
	.set _ZN2at6native12_GLOBAL__N_121max_pool_forward_nhwcIN3c108BFloat16ElEEvPKT_iT0_S8_S8_S8_S8_iiiiiiiiS8_S8_S8_S8_iiPS5_Pl.num_agpr, 0
	.set _ZN2at6native12_GLOBAL__N_121max_pool_forward_nhwcIN3c108BFloat16ElEEvPKT_iT0_S8_S8_S8_S8_iiiiiiiiS8_S8_S8_S8_iiPS5_Pl.numbered_sgpr, 81
	.set _ZN2at6native12_GLOBAL__N_121max_pool_forward_nhwcIN3c108BFloat16ElEEvPKT_iT0_S8_S8_S8_S8_iiiiiiiiS8_S8_S8_S8_iiPS5_Pl.num_named_barrier, 0
	.set _ZN2at6native12_GLOBAL__N_121max_pool_forward_nhwcIN3c108BFloat16ElEEvPKT_iT0_S8_S8_S8_S8_iiiiiiiiS8_S8_S8_S8_iiPS5_Pl.private_seg_size, 0
	.set _ZN2at6native12_GLOBAL__N_121max_pool_forward_nhwcIN3c108BFloat16ElEEvPKT_iT0_S8_S8_S8_S8_iiiiiiiiS8_S8_S8_S8_iiPS5_Pl.uses_vcc, 1
	.set _ZN2at6native12_GLOBAL__N_121max_pool_forward_nhwcIN3c108BFloat16ElEEvPKT_iT0_S8_S8_S8_S8_iiiiiiiiS8_S8_S8_S8_iiPS5_Pl.uses_flat_scratch, 0
	.set _ZN2at6native12_GLOBAL__N_121max_pool_forward_nhwcIN3c108BFloat16ElEEvPKT_iT0_S8_S8_S8_S8_iiiiiiiiS8_S8_S8_S8_iiPS5_Pl.has_dyn_sized_stack, 0
	.set _ZN2at6native12_GLOBAL__N_121max_pool_forward_nhwcIN3c108BFloat16ElEEvPKT_iT0_S8_S8_S8_S8_iiiiiiiiS8_S8_S8_S8_iiPS5_Pl.has_recursion, 0
	.set _ZN2at6native12_GLOBAL__N_121max_pool_forward_nhwcIN3c108BFloat16ElEEvPKT_iT0_S8_S8_S8_S8_iiiiiiiiS8_S8_S8_S8_iiPS5_Pl.has_indirect_call, 0
	.section	.AMDGPU.csdata,"",@progbits
; Kernel info:
; codeLenInByte = 4864
; TotalNumSgprs: 85
; NumVgprs: 62
; ScratchSize: 0
; MemoryBound: 0
; FloatMode: 240
; IeeeMode: 1
; LDSByteSize: 0 bytes/workgroup (compile time only)
; SGPRBlocks: 10
; VGPRBlocks: 15
; NumSGPRsForWavesPerEU: 85
; NumVGPRsForWavesPerEU: 62
; Occupancy: 4
; WaveLimiterHint : 1
; COMPUTE_PGM_RSRC2:SCRATCH_EN: 0
; COMPUTE_PGM_RSRC2:USER_SGPR: 6
; COMPUTE_PGM_RSRC2:TRAP_HANDLER: 0
; COMPUTE_PGM_RSRC2:TGID_X_EN: 1
; COMPUTE_PGM_RSRC2:TGID_Y_EN: 1
; COMPUTE_PGM_RSRC2:TGID_Z_EN: 1
; COMPUTE_PGM_RSRC2:TIDIG_COMP_CNT: 2
	.section	.text._ZN2at6native12_GLOBAL__N_121max_pool_forward_nchwIN3c108BFloat16EiEEvT0_PKT_llliiiiiiiiiiPS6_Pl,"axG",@progbits,_ZN2at6native12_GLOBAL__N_121max_pool_forward_nchwIN3c108BFloat16EiEEvT0_PKT_llliiiiiiiiiiPS6_Pl,comdat
	.globl	_ZN2at6native12_GLOBAL__N_121max_pool_forward_nchwIN3c108BFloat16EiEEvT0_PKT_llliiiiiiiiiiPS6_Pl ; -- Begin function _ZN2at6native12_GLOBAL__N_121max_pool_forward_nchwIN3c108BFloat16EiEEvT0_PKT_llliiiiiiiiiiPS6_Pl
	.p2align	8
	.type	_ZN2at6native12_GLOBAL__N_121max_pool_forward_nchwIN3c108BFloat16EiEEvT0_PKT_llliiiiiiiiiiPS6_Pl,@function
_ZN2at6native12_GLOBAL__N_121max_pool_forward_nchwIN3c108BFloat16EiEEvT0_PKT_llliiiiiiiiiiPS6_Pl: ; @_ZN2at6native12_GLOBAL__N_121max_pool_forward_nchwIN3c108BFloat16EiEEvT0_PKT_llliiiiiiiiiiPS6_Pl
; %bb.0:
	s_load_dword s24, s[4:5], 0x0
	s_load_dword s2, s[4:5], 0x6c
	v_mov_b32_e32 v1, 0
	v_mov_b32_e32 v2, s6
	s_waitcnt lgkmcnt(0)
	s_ashr_i32 s25, s24, 31
	s_add_u32 s0, s4, 0x60
	s_addc_u32 s1, s5, 0
	s_and_b32 s2, s2, 0xffff
	v_mad_u64_u32 v[0:1], s[6:7], s2, v2, v[0:1]
	v_cmp_gt_i64_e32 vcc, s[24:25], v[0:1]
	s_and_saveexec_b64 s[6:7], vcc
	s_cbranch_execz .LBB14_11
; %bb.1:
	s_load_dwordx8 s[8:15], s[4:5], 0x28
	s_load_dwordx2 s[6:7], s[4:5], 0x48
	s_load_dwordx2 s[26:27], s[4:5], 0x8
	s_load_dwordx4 s[16:19], s[4:5], 0x18
	s_load_dwordx4 s[20:23], s[4:5], 0x50
	s_load_dword s3, s[0:1], 0x0
	s_waitcnt lgkmcnt(0)
	s_abs_i32 s33, s9
	v_cvt_f32_u32_e32 v2, s33
	s_abs_i32 s50, s8
	s_max_u32 s49, s6, 1
	v_cvt_f32_u32_e32 v3, s50
	s_max_u32 s51, s7, 1
	v_cvt_f32_u32_e32 v5, s49
	v_rcp_iflag_f32_e32 v2, v2
	v_cvt_f32_u32_e32 v6, s51
	v_rcp_iflag_f32_e32 v3, v3
	v_rcp_iflag_f32_e32 v5, v5
	v_mul_f32_e32 v2, 0x4f7ffffe, v2
	v_rcp_iflag_f32_e32 v6, v6
	v_cvt_u32_f32_e32 v2, v2
	s_add_i32 s0, s10, -1
	v_mul_f32_e32 v3, 0x4f7ffffe, v3
	s_mul_i32 s46, s6, s0
	s_add_i32 s0, s11, -1
	v_cvt_u32_f32_e32 v3, v3
	v_mul_f32_e32 v5, 0x4f7ffffe, v5
	s_mul_i32 s47, s7, s0
	s_sub_i32 s0, 0, s33
	v_cvt_u32_f32_e32 v5, v5
	v_mul_f32_e32 v6, 0x4f7ffffe, v6
	v_mul_lo_u32 v4, s0, v2
	v_cvt_u32_f32_e32 v6, v6
	s_sub_i32 s0, 0, s50
	v_mul_lo_u32 v7, s0, v3
	s_sub_i32 s0, 0, s49
	v_mul_lo_u32 v9, s0, v5
	s_sub_i32 s0, 0, s51
	v_mul_hi_u32 v4, v2, v4
	v_mul_lo_u32 v10, s0, v6
	s_mul_i32 s0, s18, s17
	s_mul_hi_u32 s1, s18, s16
	s_add_i32 s0, s1, s0
	s_mul_i32 s1, s19, s16
	s_add_i32 s1, s0, s1
	s_mul_i32 s0, s18, s16
	v_add_u32_e32 v8, v2, v4
	v_mul_hi_u32 v2, v3, v7
	v_mul_hi_u32 v4, v5, v9
	;; [unrolled: 1-line block ×3, first 2 shown]
	s_lshl_b64 s[10:11], s[0:1], 1
	s_ashr_i32 s0, s6, 31
	s_mul_hi_u32 s1, s18, s6
	s_mul_i32 s0, s18, s0
	s_add_i32 s0, s1, s0
	s_mul_i32 s1, s19, s6
	s_add_i32 s29, s0, s1
	s_mul_i32 s28, s6, s18
	s_ashr_i32 s1, s7, 31
	s_mov_b32 s0, s7
	s_add_i32 s46, s46, 1
	s_add_i32 s47, s47, 1
	s_mul_i32 s48, s3, s2
	s_ashr_i32 s52, s9, 31
	s_ashr_i32 s53, s8, 31
	v_add_u32_e32 v9, v3, v2
	v_add_u32_e32 v10, v5, v4
	;; [unrolled: 1-line block ×3, first 2 shown]
	s_sub_i32 s17, 0, s15
	s_lshl_b64 s[30:31], s[28:29], 1
	s_lshl_b64 s[34:35], s[0:1], 1
	s_mov_b64 s[36:37], 0
	s_branch .LBB14_4
.LBB14_2:                               ;   in Loop: Header=BB14_4 Depth=1
	s_or_b64 exec, exec, s[40:41]
.LBB14_3:                               ;   in Loop: Header=BB14_4 Depth=1
	s_or_b64 exec, exec, s[38:39]
	v_lshlrev_b64 v[3:4], 1, v[0:1]
	v_mov_b32_e32 v5, s21
	v_add_co_u32_e32 v3, vcc, s20, v3
	v_addc_co_u32_e32 v4, vcc, v5, v4, vcc
	global_store_short v[3:4], v15, off
	v_lshlrev_b64 v[4:5], 3, v[0:1]
	v_add_co_u32_e32 v0, vcc, s48, v0
	v_addc_co_u32_e32 v1, vcc, 0, v1, vcc
	v_cmp_le_i64_e32 vcc, s[24:25], v[0:1]
	v_mov_b32_e32 v6, s23
	v_add_co_u32_e64 v4, s[0:1], s22, v4
	v_ashrrev_i32_e32 v3, 31, v2
	v_addc_co_u32_e64 v5, s[0:1], v6, v5, s[0:1]
	s_or_b64 s[36:37], vcc, s[36:37]
	global_store_dwordx2 v[4:5], v[2:3], off
	s_andn2_b64 exec, exec, s[36:37]
	s_cbranch_execz .LBB14_11
.LBB14_4:                               ; =>This Loop Header: Depth=1
                                        ;     Child Loop BB14_7 Depth 2
                                        ;       Child Loop BB14_9 Depth 3
	v_sub_u32_e32 v2, 0, v0
	v_max_i32_e32 v2, v0, v2
	v_mul_hi_u32 v3, v2, v8
	v_ashrrev_i32_e32 v5, 31, v0
	v_xor_b32_e32 v5, s52, v5
	v_mov_b32_e32 v15, 0xffffff80
	v_mul_lo_u32 v4, v3, s33
	v_add_u32_e32 v6, 1, v3
	v_sub_u32_e32 v2, v2, v4
	v_cmp_le_u32_e32 vcc, s33, v2
	v_subrev_u32_e32 v4, s33, v2
	v_cndmask_b32_e32 v3, v3, v6, vcc
	v_cndmask_b32_e32 v2, v2, v4, vcc
	v_add_u32_e32 v4, 1, v3
	v_cmp_le_u32_e32 vcc, s33, v2
	v_cndmask_b32_e32 v2, v3, v4, vcc
	v_xor_b32_e32 v2, v2, v5
	v_sub_u32_e32 v2, v2, v5
	v_sub_u32_e32 v3, 0, v2
	v_max_i32_e32 v3, v2, v3
	v_mul_hi_u32 v4, v3, v9
	v_ashrrev_i32_e32 v6, 31, v2
	v_xor_b32_e32 v6, s53, v6
	v_mul_lo_u32 v5, v4, s50
	v_add_u32_e32 v7, 1, v4
	v_sub_u32_e32 v3, v3, v5
	v_cmp_le_u32_e32 vcc, s50, v3
	v_subrev_u32_e32 v5, s50, v3
	v_cndmask_b32_e32 v4, v4, v7, vcc
	v_cndmask_b32_e32 v3, v3, v5, vcc
	v_add_u32_e32 v5, 1, v4
	v_cmp_le_u32_e32 vcc, s50, v3
	v_cndmask_b32_e32 v3, v4, v5, vcc
	v_xor_b32_e32 v3, v3, v6
	v_sub_u32_e32 v5, v3, v6
	v_mul_lo_u32 v3, v5, s8
	v_mul_lo_u32 v4, v2, s9
	v_sub_u32_e32 v2, v2, v3
	v_mul_lo_u32 v3, v2, s12
	v_sub_u32_e32 v2, v0, v4
	v_mul_lo_u32 v7, v2, s13
	v_subrev_u32_e32 v2, s14, v3
	v_max_i32_e32 v4, 0, v2
	v_add_u32_e32 v4, s14, v4
	v_cmp_ne_u32_e32 vcc, v4, v3
	v_cndmask_b32_e64 v6, 0, 1, vcc
	v_add_u32_e32 v3, v3, v6
	v_sub_u32_e32 v3, v4, v3
	v_mul_hi_u32 v4, v3, v10
	v_subrev_u32_e32 v6, s15, v7
	v_max_i32_e32 v13, 0, v6
	v_add_u32_e32 v13, s15, v13
	v_mul_lo_u32 v12, v4, s49
	v_add_u32_e32 v14, 1, v4
	v_sub_u32_e32 v3, v3, v12
	v_cmp_le_u32_e64 s[0:1], s49, v3
	v_subrev_u32_e32 v12, s49, v3
	v_cndmask_b32_e64 v4, v4, v14, s[0:1]
	v_cndmask_b32_e64 v3, v3, v12, s[0:1]
	v_cmp_ne_u32_e64 s[0:1], v13, v7
	v_cndmask_b32_e64 v12, 0, 1, s[0:1]
	v_add_u32_e32 v12, v7, v12
	v_sub_u32_e32 v12, v13, v12
	v_mul_hi_u32 v13, v12, v11
	v_add_u32_e32 v14, 1, v4
	v_cmp_le_u32_e64 s[2:3], s49, v3
	v_cndmask_b32_e64 v3, v4, v14, s[2:3]
	v_mul_lo_u32 v14, v13, s51
	v_addc_co_u32_e32 v3, vcc, 0, v3, vcc
	v_mad_u64_u32 v[3:4], s[2:3], s6, v3, v[2:3]
	v_sub_u32_e32 v4, v12, v14
	v_add_u32_e32 v12, 1, v13
	v_cmp_le_u32_e32 vcc, s51, v4
	v_cndmask_b32_e32 v12, v13, v12, vcc
	v_subrev_u32_e32 v13, s51, v4
	v_cndmask_b32_e32 v4, v4, v13, vcc
	v_add_u32_e32 v13, 1, v12
	v_cmp_le_u32_e32 vcc, s51, v4
	v_cndmask_b32_e32 v4, v12, v13, vcc
	v_addc_co_u32_e64 v4, vcc, 0, v4, s[0:1]
	v_mul_lo_u32 v4, s7, v4
	v_mul_lo_u32 v12, v3, s18
	v_add_u32_e32 v2, s46, v2
	v_min_i32_e32 v13, s16, v2
	v_add_u32_e32 v14, v6, v4
	v_add_u32_e32 v2, v14, v12
	v_cmp_lt_i32_e32 vcc, v3, v13
	s_and_saveexec_b64 s[38:39], vcc
	s_cbranch_execz .LBB14_3
; %bb.5:                                ;   in Loop: Header=BB14_4 Depth=1
	v_add3_u32 v15, s17, v4, v7
	v_ashrrev_i32_e32 v17, 31, v3
	v_ashrrev_i32_e32 v16, 31, v15
	v_mad_u64_u32 v[15:16], s[0:1], s18, v3, v[15:16]
	v_mul_lo_u32 v4, s19, v3
	v_mul_lo_u32 v7, s18, v17
	v_ashrrev_i32_e32 v19, 31, v5
	v_add_u32_e32 v6, s47, v6
	s_mov_b64 s[40:41], 0
	v_add3_u32 v16, v4, v16, v7
	v_lshlrev_b64 v[15:16], 1, v[15:16]
	v_mul_lo_u32 v4, s11, v5
	v_mad_u64_u32 v[17:18], s[0:1], s10, v5, v[15:16]
	v_mul_lo_u32 v5, s10, v19
	v_min_i32_e32 v16, s18, v6
	v_mov_b32_e32 v6, s27
	v_cmp_lt_i32_e32 vcc, v14, v16
	v_add3_u32 v5, v4, v18, v5
	v_add_co_u32_e64 v4, s[0:1], s26, v17
	v_addc_co_u32_e64 v5, s[0:1], v6, v5, s[0:1]
	v_mov_b32_e32 v15, 0xffffff80
	s_branch .LBB14_7
.LBB14_6:                               ;   in Loop: Header=BB14_7 Depth=2
	s_or_b64 exec, exec, s[42:43]
	v_mov_b32_e32 v6, s31
	v_add_co_u32_e64 v4, s[0:1], s30, v4
	v_add_u32_e32 v3, s6, v3
	v_addc_co_u32_e64 v5, s[0:1], v5, v6, s[0:1]
	v_cmp_ge_i32_e64 s[0:1], v3, v13
	s_or_b64 s[40:41], s[0:1], s[40:41]
	v_add_u32_e32 v12, s28, v12
	s_andn2_b64 exec, exec, s[40:41]
	s_cbranch_execz .LBB14_2
.LBB14_7:                               ;   Parent Loop BB14_4 Depth=1
                                        ; =>  This Loop Header: Depth=2
                                        ;       Child Loop BB14_9 Depth 3
	s_and_saveexec_b64 s[42:43], vcc
	s_cbranch_execz .LBB14_6
; %bb.8:                                ;   in Loop: Header=BB14_7 Depth=2
	v_mov_b32_e32 v7, v5
	s_mov_b64 s[44:45], 0
	v_mov_b32_e32 v6, v4
	v_mov_b32_e32 v17, v14
.LBB14_9:                               ;   Parent Loop BB14_4 Depth=1
                                        ;     Parent Loop BB14_7 Depth=2
                                        ; =>    This Inner Loop Header: Depth=3
	global_load_ushort v18, v[6:7], off
	v_mov_b32_e32 v21, s35
	v_add_co_u32_e64 v6, s[0:1], s34, v6
	v_lshlrev_b32_e32 v19, 16, v15
	v_addc_co_u32_e64 v7, s[0:1], v7, v21, s[0:1]
	v_add_u32_e32 v20, v12, v17
	v_add_u32_e32 v17, s7, v17
	v_cmp_ge_i32_e64 s[0:1], v17, v16
	s_waitcnt vmcnt(0)
	v_lshlrev_b32_e32 v21, 16, v18
	v_cmp_gt_f32_e64 s[2:3], v21, v19
	v_cmp_u_f32_e64 s[4:5], v21, v21
	s_or_b64 s[2:3], s[2:3], s[4:5]
	v_cndmask_b32_e64 v15, v15, v18, s[2:3]
	s_or_b64 s[44:45], s[0:1], s[44:45]
	v_cndmask_b32_e64 v2, v2, v20, s[2:3]
	s_andn2_b64 exec, exec, s[44:45]
	s_cbranch_execnz .LBB14_9
; %bb.10:                               ;   in Loop: Header=BB14_7 Depth=2
	s_or_b64 exec, exec, s[44:45]
	s_branch .LBB14_6
.LBB14_11:
	s_endpgm
	.section	.rodata,"a",@progbits
	.p2align	6, 0x0
	.amdhsa_kernel _ZN2at6native12_GLOBAL__N_121max_pool_forward_nchwIN3c108BFloat16EiEEvT0_PKT_llliiiiiiiiiiPS6_Pl
		.amdhsa_group_segment_fixed_size 0
		.amdhsa_private_segment_fixed_size 0
		.amdhsa_kernarg_size 352
		.amdhsa_user_sgpr_count 6
		.amdhsa_user_sgpr_private_segment_buffer 1
		.amdhsa_user_sgpr_dispatch_ptr 0
		.amdhsa_user_sgpr_queue_ptr 0
		.amdhsa_user_sgpr_kernarg_segment_ptr 1
		.amdhsa_user_sgpr_dispatch_id 0
		.amdhsa_user_sgpr_flat_scratch_init 0
		.amdhsa_user_sgpr_private_segment_size 0
		.amdhsa_uses_dynamic_stack 0
		.amdhsa_system_sgpr_private_segment_wavefront_offset 0
		.amdhsa_system_sgpr_workgroup_id_x 1
		.amdhsa_system_sgpr_workgroup_id_y 0
		.amdhsa_system_sgpr_workgroup_id_z 0
		.amdhsa_system_sgpr_workgroup_info 0
		.amdhsa_system_vgpr_workitem_id 0
		.amdhsa_next_free_vgpr 22
		.amdhsa_next_free_sgpr 54
		.amdhsa_reserve_vcc 1
		.amdhsa_reserve_flat_scratch 0
		.amdhsa_float_round_mode_32 0
		.amdhsa_float_round_mode_16_64 0
		.amdhsa_float_denorm_mode_32 3
		.amdhsa_float_denorm_mode_16_64 3
		.amdhsa_dx10_clamp 1
		.amdhsa_ieee_mode 1
		.amdhsa_fp16_overflow 0
		.amdhsa_exception_fp_ieee_invalid_op 0
		.amdhsa_exception_fp_denorm_src 0
		.amdhsa_exception_fp_ieee_div_zero 0
		.amdhsa_exception_fp_ieee_overflow 0
		.amdhsa_exception_fp_ieee_underflow 0
		.amdhsa_exception_fp_ieee_inexact 0
		.amdhsa_exception_int_div_zero 0
	.end_amdhsa_kernel
	.section	.text._ZN2at6native12_GLOBAL__N_121max_pool_forward_nchwIN3c108BFloat16EiEEvT0_PKT_llliiiiiiiiiiPS6_Pl,"axG",@progbits,_ZN2at6native12_GLOBAL__N_121max_pool_forward_nchwIN3c108BFloat16EiEEvT0_PKT_llliiiiiiiiiiPS6_Pl,comdat
.Lfunc_end14:
	.size	_ZN2at6native12_GLOBAL__N_121max_pool_forward_nchwIN3c108BFloat16EiEEvT0_PKT_llliiiiiiiiiiPS6_Pl, .Lfunc_end14-_ZN2at6native12_GLOBAL__N_121max_pool_forward_nchwIN3c108BFloat16EiEEvT0_PKT_llliiiiiiiiiiPS6_Pl
                                        ; -- End function
	.set _ZN2at6native12_GLOBAL__N_121max_pool_forward_nchwIN3c108BFloat16EiEEvT0_PKT_llliiiiiiiiiiPS6_Pl.num_vgpr, 22
	.set _ZN2at6native12_GLOBAL__N_121max_pool_forward_nchwIN3c108BFloat16EiEEvT0_PKT_llliiiiiiiiiiPS6_Pl.num_agpr, 0
	.set _ZN2at6native12_GLOBAL__N_121max_pool_forward_nchwIN3c108BFloat16EiEEvT0_PKT_llliiiiiiiiiiPS6_Pl.numbered_sgpr, 54
	.set _ZN2at6native12_GLOBAL__N_121max_pool_forward_nchwIN3c108BFloat16EiEEvT0_PKT_llliiiiiiiiiiPS6_Pl.num_named_barrier, 0
	.set _ZN2at6native12_GLOBAL__N_121max_pool_forward_nchwIN3c108BFloat16EiEEvT0_PKT_llliiiiiiiiiiPS6_Pl.private_seg_size, 0
	.set _ZN2at6native12_GLOBAL__N_121max_pool_forward_nchwIN3c108BFloat16EiEEvT0_PKT_llliiiiiiiiiiPS6_Pl.uses_vcc, 1
	.set _ZN2at6native12_GLOBAL__N_121max_pool_forward_nchwIN3c108BFloat16EiEEvT0_PKT_llliiiiiiiiiiPS6_Pl.uses_flat_scratch, 0
	.set _ZN2at6native12_GLOBAL__N_121max_pool_forward_nchwIN3c108BFloat16EiEEvT0_PKT_llliiiiiiiiiiPS6_Pl.has_dyn_sized_stack, 0
	.set _ZN2at6native12_GLOBAL__N_121max_pool_forward_nchwIN3c108BFloat16EiEEvT0_PKT_llliiiiiiiiiiPS6_Pl.has_recursion, 0
	.set _ZN2at6native12_GLOBAL__N_121max_pool_forward_nchwIN3c108BFloat16EiEEvT0_PKT_llliiiiiiiiiiPS6_Pl.has_indirect_call, 0
	.section	.AMDGPU.csdata,"",@progbits
; Kernel info:
; codeLenInByte = 1324
; TotalNumSgprs: 58
; NumVgprs: 22
; ScratchSize: 0
; MemoryBound: 0
; FloatMode: 240
; IeeeMode: 1
; LDSByteSize: 0 bytes/workgroup (compile time only)
; SGPRBlocks: 7
; VGPRBlocks: 5
; NumSGPRsForWavesPerEU: 58
; NumVGPRsForWavesPerEU: 22
; Occupancy: 10
; WaveLimiterHint : 0
; COMPUTE_PGM_RSRC2:SCRATCH_EN: 0
; COMPUTE_PGM_RSRC2:USER_SGPR: 6
; COMPUTE_PGM_RSRC2:TRAP_HANDLER: 0
; COMPUTE_PGM_RSRC2:TGID_X_EN: 1
; COMPUTE_PGM_RSRC2:TGID_Y_EN: 0
; COMPUTE_PGM_RSRC2:TGID_Z_EN: 0
; COMPUTE_PGM_RSRC2:TIDIG_COMP_CNT: 0
	.section	.text._ZN2at6native12_GLOBAL__N_121max_pool_forward_nchwIN3c108BFloat16ElEEvT0_PKT_llliiiiiiiiiiPS6_Pl,"axG",@progbits,_ZN2at6native12_GLOBAL__N_121max_pool_forward_nchwIN3c108BFloat16ElEEvT0_PKT_llliiiiiiiiiiPS6_Pl,comdat
	.globl	_ZN2at6native12_GLOBAL__N_121max_pool_forward_nchwIN3c108BFloat16ElEEvT0_PKT_llliiiiiiiiiiPS6_Pl ; -- Begin function _ZN2at6native12_GLOBAL__N_121max_pool_forward_nchwIN3c108BFloat16ElEEvT0_PKT_llliiiiiiiiiiPS6_Pl
	.p2align	8
	.type	_ZN2at6native12_GLOBAL__N_121max_pool_forward_nchwIN3c108BFloat16ElEEvT0_PKT_llliiiiiiiiiiPS6_Pl,@function
_ZN2at6native12_GLOBAL__N_121max_pool_forward_nchwIN3c108BFloat16ElEEvT0_PKT_llliiiiiiiiiiPS6_Pl: ; @_ZN2at6native12_GLOBAL__N_121max_pool_forward_nchwIN3c108BFloat16ElEEvT0_PKT_llliiiiiiiiiiPS6_Pl
; %bb.0:
	s_load_dword s2, s[4:5], 0x6c
	s_load_dwordx4 s[16:19], s[4:5], 0x0
	s_add_u32 s0, s4, 0x60
	v_mov_b32_e32 v2, 0
	s_addc_u32 s1, s5, 0
	s_waitcnt lgkmcnt(0)
	s_and_b32 s2, s2, 0xffff
	v_mov_b32_e32 v1, v2
	v_mov_b32_e32 v3, s6
	v_mad_u64_u32 v[0:1], s[6:7], s2, v3, v[0:1]
	v_cmp_gt_i64_e32 vcc, s[16:17], v[0:1]
	s_and_saveexec_b64 s[6:7], vcc
	s_cbranch_execz .LBB15_27
; %bb.1:
	s_load_dwordx8 s[8:15], s[4:5], 0x28
	s_load_dwordx4 s[20:23], s[4:5], 0x18
	s_load_dwordx2 s[6:7], s[4:5], 0x48
	s_load_dwordx4 s[24:27], s[4:5], 0x50
	s_load_dword s3, s[0:1], 0x0
	s_waitcnt lgkmcnt(0)
	s_add_i32 s0, s10, -1
	s_ashr_i32 s33, s9, 31
	s_mul_i32 s53, s6, s0
	s_add_i32 s0, s11, -1
	s_ashr_i32 s11, s6, 31
	s_mov_b32 s10, s6
	s_mul_i32 s54, s7, s0
	v_cmp_gt_u64_e64 s[0:1], s[10:11], 1
	s_ashr_i32 s44, s8, 31
	s_ashr_i32 s45, s12, 31
	s_ashr_i32 s47, s14, 31
	s_ashr_i32 s49, s13, 31
	s_mov_b32 s50, s13
	s_ashr_i32 s51, s15, 31
	s_add_i32 s53, s53, 1
	s_add_i32 s54, s54, 1
	s_ashr_i32 s13, s7, 31
	s_mov_b32 s46, s12
	s_mov_b32 s12, s7
	s_and_b64 s[0:1], s[0:1], exec
	v_cmp_gt_u64_e64 s[0:1], s[12:13], 1
	s_cselect_b32 s56, s11, 0
	s_cselect_b32 s57, s6, 1
	s_and_b64 s[0:1], s[0:1], exec
	s_mul_i32 s0, s22, s21
	s_mul_hi_u32 s1, s22, s20
	s_cselect_b32 s58, s13, 0
	s_cselect_b32 s59, s7, 1
	s_add_i32 s0, s1, s0
	s_mul_i32 s1, s23, s20
	s_add_i32 s1, s0, s1
	s_mul_i32 s0, s22, s20
	s_mov_b32 s48, s14
	s_mov_b32 s52, s15
	s_mul_i32 s55, s3, s2
	s_lshl_b64 s[14:15], s[0:1], 1
	s_lshl_b64 s[28:29], s[12:13], 1
	s_mov_b64 s[30:31], 0
	s_ashr_i32 s34, s33, 31
	s_branch .LBB15_4
.LBB15_2:                               ;   in Loop: Header=BB15_4 Depth=1
	s_or_b64 exec, exec, s[38:39]
.LBB15_3:                               ;   in Loop: Header=BB15_4 Depth=1
	s_or_b64 exec, exec, s[36:37]
	v_lshlrev_b64 v[3:4], 1, v[0:1]
	v_mov_b32_e32 v5, s25
	v_add_co_u32_e32 v3, vcc, s24, v3
	v_addc_co_u32_e32 v4, vcc, v5, v4, vcc
	global_store_short v[3:4], v12, off
	v_lshlrev_b64 v[3:4], 3, v[0:1]
	v_add_co_u32_e32 v0, vcc, s55, v0
	v_addc_co_u32_e32 v1, vcc, 0, v1, vcc
	v_cmp_le_i64_e32 vcc, s[16:17], v[0:1]
	v_mov_b32_e32 v5, s27
	v_add_co_u32_e64 v3, s[0:1], s26, v3
	v_addc_co_u32_e64 v4, s[0:1], v5, v4, s[0:1]
	s_or_b64 s[30:31], vcc, s[30:31]
	global_store_dwordx2 v[3:4], v[9:10], off
	s_andn2_b64 exec, exec, s[30:31]
	s_cbranch_execz .LBB15_27
.LBB15_4:                               ; =>This Loop Header: Depth=1
                                        ;     Child Loop BB15_23 Depth 2
                                        ;       Child Loop BB15_25 Depth 3
	v_or_b32_e32 v3, s33, v1
	v_cmp_ne_u64_e32 vcc, 0, v[2:3]
                                        ; implicit-def: $vgpr6_vgpr7
	s_and_saveexec_b64 s[0:1], vcc
	s_xor_b64 s[2:3], exec, s[0:1]
	s_cbranch_execz .LBB15_6
; %bb.5:                                ;   in Loop: Header=BB15_4 Depth=1
	s_add_u32 s0, s9, s34
	s_mov_b32 s35, s34
	s_addc_u32 s1, s33, s34
	s_xor_b64 s[4:5], s[0:1], s[34:35]
	v_cvt_f32_u32_e32 v3, s4
	v_cvt_f32_u32_e32 v4, s5
	s_sub_u32 s21, 0, s4
	s_subb_u32 s35, 0, s5
	v_ashrrev_i32_e32 v7, 31, v1
	v_mac_f32_e32 v3, 0x4f800000, v4
	v_rcp_f32_e32 v3, v3
	v_mul_f32_e32 v3, 0x5f7ffffc, v3
	v_mul_f32_e32 v4, 0x2f800000, v3
	v_trunc_f32_e32 v4, v4
	v_mac_f32_e32 v3, 0xcf800000, v4
	v_cvt_u32_f32_e32 v4, v4
	v_cvt_u32_f32_e32 v3, v3
	v_readfirstlane_b32 s36, v4
	v_readfirstlane_b32 s0, v3
	s_mul_i32 s1, s21, s36
	s_mul_hi_u32 s38, s21, s0
	s_mul_i32 s37, s35, s0
	s_add_i32 s1, s38, s1
	s_add_i32 s1, s1, s37
	s_mul_i32 s39, s21, s0
	s_mul_i32 s38, s0, s1
	s_mul_hi_u32 s40, s0, s39
	s_mul_hi_u32 s37, s0, s1
	s_add_u32 s38, s40, s38
	s_addc_u32 s37, 0, s37
	s_mul_hi_u32 s41, s36, s39
	s_mul_i32 s39, s36, s39
	s_add_u32 s38, s38, s39
	s_mul_hi_u32 s40, s36, s1
	s_addc_u32 s37, s37, s41
	s_addc_u32 s38, s40, 0
	s_mul_i32 s1, s36, s1
	s_add_u32 s1, s37, s1
	s_addc_u32 s37, 0, s38
	s_add_u32 s38, s0, s1
	s_cselect_b64 s[0:1], -1, 0
	s_cmp_lg_u64 s[0:1], 0
	s_addc_u32 s36, s36, s37
	s_mul_i32 s0, s21, s36
	s_mul_hi_u32 s1, s21, s38
	s_add_i32 s0, s1, s0
	s_mul_i32 s35, s35, s38
	s_add_i32 s0, s0, s35
	s_mul_i32 s21, s21, s38
	s_mul_hi_u32 s35, s36, s21
	s_mul_i32 s37, s36, s21
	s_mul_i32 s40, s38, s0
	s_mul_hi_u32 s21, s38, s21
	s_mul_hi_u32 s39, s38, s0
	s_add_u32 s21, s21, s40
	s_addc_u32 s39, 0, s39
	s_add_u32 s21, s21, s37
	s_mul_hi_u32 s1, s36, s0
	s_addc_u32 s21, s39, s35
	s_addc_u32 s1, s1, 0
	s_mul_i32 s0, s36, s0
	s_add_u32 s0, s21, s0
	s_addc_u32 s21, 0, s1
	s_add_u32 s35, s38, s0
	s_cselect_b64 s[0:1], -1, 0
	s_cmp_lg_u64 s[0:1], 0
	v_add_co_u32_e32 v3, vcc, v0, v7
	s_addc_u32 s21, s36, s21
	v_xor_b32_e32 v8, v3, v7
	v_mad_u64_u32 v[3:4], s[0:1], v8, s21, 0
	v_mul_hi_u32 v6, v8, s35
	v_addc_co_u32_e32 v5, vcc, v1, v7, vcc
	v_xor_b32_e32 v9, v5, v7
	v_add_co_u32_e32 v10, vcc, v6, v3
	v_addc_co_u32_e32 v11, vcc, 0, v4, vcc
	v_mad_u64_u32 v[3:4], s[0:1], v9, s35, 0
	v_mad_u64_u32 v[5:6], s[0:1], v9, s21, 0
	v_add_co_u32_e32 v3, vcc, v10, v3
	v_addc_co_u32_e32 v3, vcc, v11, v4, vcc
	v_addc_co_u32_e32 v4, vcc, 0, v6, vcc
	v_add_co_u32_e32 v5, vcc, v3, v5
	v_addc_co_u32_e32 v6, vcc, 0, v4, vcc
	v_mul_lo_u32 v10, s5, v5
	v_mul_lo_u32 v11, s4, v6
	v_mad_u64_u32 v[3:4], s[0:1], s4, v5, 0
	v_add3_u32 v4, v4, v11, v10
	v_sub_u32_e32 v10, v9, v4
	v_mov_b32_e32 v11, s5
	v_sub_co_u32_e32 v3, vcc, v8, v3
	v_subb_co_u32_e64 v8, s[0:1], v10, v11, vcc
	v_subrev_co_u32_e64 v10, s[0:1], s4, v3
	v_subbrev_co_u32_e64 v8, s[0:1], 0, v8, s[0:1]
	v_cmp_le_u32_e64 s[0:1], s5, v8
	v_cndmask_b32_e64 v11, 0, -1, s[0:1]
	v_cmp_le_u32_e64 s[0:1], s4, v10
	v_cndmask_b32_e64 v10, 0, -1, s[0:1]
	v_cmp_eq_u32_e64 s[0:1], s5, v8
	v_cndmask_b32_e64 v8, v11, v10, s[0:1]
	v_add_co_u32_e64 v10, s[0:1], 2, v5
	v_subb_co_u32_e32 v4, vcc, v9, v4, vcc
	v_addc_co_u32_e64 v11, s[0:1], 0, v6, s[0:1]
	v_cmp_le_u32_e32 vcc, s5, v4
	v_add_co_u32_e64 v12, s[0:1], 1, v5
	v_cndmask_b32_e64 v9, 0, -1, vcc
	v_cmp_le_u32_e32 vcc, s4, v3
	v_addc_co_u32_e64 v13, s[0:1], 0, v6, s[0:1]
	v_cndmask_b32_e64 v3, 0, -1, vcc
	v_cmp_eq_u32_e32 vcc, s5, v4
	v_cmp_ne_u32_e64 s[0:1], 0, v8
	v_cndmask_b32_e32 v3, v9, v3, vcc
	v_cmp_ne_u32_e32 vcc, 0, v3
	v_cndmask_b32_e64 v4, v12, v10, s[0:1]
	v_cndmask_b32_e64 v8, v13, v11, s[0:1]
	v_cndmask_b32_e32 v4, v5, v4, vcc
	v_xor_b32_e32 v5, s34, v7
	v_cndmask_b32_e32 v3, v6, v8, vcc
	v_xor_b32_e32 v4, v4, v5
	v_xor_b32_e32 v3, v3, v5
	v_sub_co_u32_e32 v6, vcc, v4, v5
	v_subb_co_u32_e32 v7, vcc, v3, v5, vcc
.LBB15_6:                               ;   in Loop: Header=BB15_4 Depth=1
	s_andn2_saveexec_b64 s[0:1], s[2:3]
	s_cbranch_execz .LBB15_8
; %bb.7:                                ;   in Loop: Header=BB15_4 Depth=1
	v_cvt_f32_u32_e32 v3, s9
	s_sub_i32 s2, 0, s9
	v_mov_b32_e32 v7, v2
	v_rcp_iflag_f32_e32 v3, v3
	v_mul_f32_e32 v3, 0x4f7ffffe, v3
	v_cvt_u32_f32_e32 v3, v3
	v_mul_lo_u32 v4, s2, v3
	v_mul_hi_u32 v4, v3, v4
	v_add_u32_e32 v3, v3, v4
	v_mul_hi_u32 v3, v0, v3
	v_mul_lo_u32 v4, v3, s9
	v_add_u32_e32 v5, 1, v3
	v_sub_u32_e32 v4, v0, v4
	v_subrev_u32_e32 v6, s9, v4
	v_cmp_le_u32_e32 vcc, s9, v4
	v_cndmask_b32_e32 v4, v4, v6, vcc
	v_cndmask_b32_e32 v3, v3, v5, vcc
	v_add_u32_e32 v5, 1, v3
	v_cmp_le_u32_e32 vcc, s9, v4
	v_cndmask_b32_e32 v6, v3, v5, vcc
.LBB15_8:                               ;   in Loop: Header=BB15_4 Depth=1
	s_or_b64 exec, exec, s[0:1]
	v_or_b32_e32 v3, s44, v7
	v_cmp_ne_u64_e32 vcc, 0, v[2:3]
                                        ; implicit-def: $vgpr4_vgpr5
	s_and_saveexec_b64 s[0:1], vcc
	s_xor_b64 s[2:3], exec, s[0:1]
	s_cbranch_execz .LBB15_10
; %bb.9:                                ;   in Loop: Header=BB15_4 Depth=1
	s_ashr_i32 s4, s44, 31
	s_add_u32 s0, s8, s4
	s_mov_b32 s5, s4
	s_addc_u32 s1, s44, s4
	s_xor_b64 s[36:37], s[0:1], s[4:5]
	v_cvt_f32_u32_e32 v3, s36
	v_cvt_f32_u32_e32 v4, s37
	s_sub_u32 s5, 0, s36
	s_subb_u32 s21, 0, s37
	v_ashrrev_i32_e32 v5, 31, v7
	v_mac_f32_e32 v3, 0x4f800000, v4
	v_rcp_f32_e32 v3, v3
	v_mul_f32_e32 v3, 0x5f7ffffc, v3
	v_mul_f32_e32 v4, 0x2f800000, v3
	v_trunc_f32_e32 v4, v4
	v_mac_f32_e32 v3, 0xcf800000, v4
	v_cvt_u32_f32_e32 v4, v4
	v_cvt_u32_f32_e32 v3, v3
	v_readfirstlane_b32 s35, v4
	v_readfirstlane_b32 s0, v3
	s_mul_i32 s1, s5, s35
	s_mul_hi_u32 s39, s5, s0
	s_mul_i32 s38, s21, s0
	s_add_i32 s1, s39, s1
	s_add_i32 s1, s1, s38
	s_mul_i32 s40, s5, s0
	s_mul_i32 s39, s0, s1
	s_mul_hi_u32 s41, s0, s40
	s_mul_hi_u32 s38, s0, s1
	s_add_u32 s39, s41, s39
	s_addc_u32 s38, 0, s38
	s_mul_hi_u32 s42, s35, s40
	s_mul_i32 s40, s35, s40
	s_add_u32 s39, s39, s40
	s_mul_hi_u32 s41, s35, s1
	s_addc_u32 s38, s38, s42
	s_addc_u32 s39, s41, 0
	s_mul_i32 s1, s35, s1
	s_add_u32 s1, s38, s1
	s_addc_u32 s38, 0, s39
	s_add_u32 s39, s0, s1
	s_cselect_b64 s[0:1], -1, 0
	s_cmp_lg_u64 s[0:1], 0
	s_addc_u32 s35, s35, s38
	s_mul_i32 s0, s5, s35
	s_mul_hi_u32 s1, s5, s39
	s_add_i32 s0, s1, s0
	s_mul_i32 s21, s21, s39
	s_add_i32 s0, s0, s21
	s_mul_i32 s5, s5, s39
	s_mul_hi_u32 s21, s35, s5
	s_mul_i32 s38, s35, s5
	s_mul_i32 s41, s39, s0
	s_mul_hi_u32 s5, s39, s5
	s_mul_hi_u32 s40, s39, s0
	s_add_u32 s5, s5, s41
	s_addc_u32 s40, 0, s40
	s_add_u32 s5, s5, s38
	s_mul_hi_u32 s1, s35, s0
	s_addc_u32 s5, s40, s21
	s_addc_u32 s1, s1, 0
	s_mul_i32 s0, s35, s0
	s_add_u32 s0, s5, s0
	s_addc_u32 s5, 0, s1
	s_add_u32 s21, s39, s0
	s_cselect_b64 s[0:1], -1, 0
	s_cmp_lg_u64 s[0:1], 0
	v_add_co_u32_e32 v3, vcc, v6, v5
	s_addc_u32 s5, s35, s5
	v_xor_b32_e32 v10, v3, v5
	v_mad_u64_u32 v[3:4], s[0:1], v10, s5, 0
	v_mul_hi_u32 v9, v10, s21
	v_addc_co_u32_e32 v8, vcc, v7, v5, vcc
	v_xor_b32_e32 v11, v8, v5
	v_add_co_u32_e32 v12, vcc, v9, v3
	v_addc_co_u32_e32 v13, vcc, 0, v4, vcc
	v_mad_u64_u32 v[3:4], s[0:1], v11, s21, 0
	v_mad_u64_u32 v[8:9], s[0:1], v11, s5, 0
	v_add_co_u32_e32 v3, vcc, v12, v3
	v_addc_co_u32_e32 v3, vcc, v13, v4, vcc
	v_addc_co_u32_e32 v4, vcc, 0, v9, vcc
	v_add_co_u32_e32 v8, vcc, v3, v8
	v_addc_co_u32_e32 v9, vcc, 0, v4, vcc
	v_mul_lo_u32 v12, s37, v8
	v_mul_lo_u32 v13, s36, v9
	v_mad_u64_u32 v[3:4], s[0:1], s36, v8, 0
	v_xor_b32_e32 v5, s4, v5
	v_add3_u32 v4, v4, v13, v12
	v_sub_u32_e32 v12, v11, v4
	v_mov_b32_e32 v13, s37
	v_sub_co_u32_e32 v3, vcc, v10, v3
	v_subb_co_u32_e64 v10, s[0:1], v12, v13, vcc
	v_subrev_co_u32_e64 v12, s[0:1], s36, v3
	v_subbrev_co_u32_e64 v10, s[0:1], 0, v10, s[0:1]
	v_cmp_le_u32_e64 s[0:1], s37, v10
	v_cndmask_b32_e64 v13, 0, -1, s[0:1]
	v_cmp_le_u32_e64 s[0:1], s36, v12
	v_cndmask_b32_e64 v12, 0, -1, s[0:1]
	v_cmp_eq_u32_e64 s[0:1], s37, v10
	v_cndmask_b32_e64 v10, v13, v12, s[0:1]
	v_add_co_u32_e64 v12, s[0:1], 2, v8
	v_subb_co_u32_e32 v4, vcc, v11, v4, vcc
	v_addc_co_u32_e64 v13, s[0:1], 0, v9, s[0:1]
	v_cmp_le_u32_e32 vcc, s37, v4
	v_add_co_u32_e64 v14, s[0:1], 1, v8
	v_cndmask_b32_e64 v11, 0, -1, vcc
	v_cmp_le_u32_e32 vcc, s36, v3
	v_addc_co_u32_e64 v15, s[0:1], 0, v9, s[0:1]
	v_cndmask_b32_e64 v3, 0, -1, vcc
	v_cmp_eq_u32_e32 vcc, s37, v4
	v_cmp_ne_u32_e64 s[0:1], 0, v10
	v_cndmask_b32_e32 v3, v11, v3, vcc
	v_cmp_ne_u32_e32 vcc, 0, v3
	v_cndmask_b32_e64 v4, v14, v12, s[0:1]
	v_cndmask_b32_e64 v10, v15, v13, s[0:1]
	v_cndmask_b32_e32 v4, v8, v4, vcc
	v_cndmask_b32_e32 v3, v9, v10, vcc
	v_xor_b32_e32 v4, v4, v5
	v_xor_b32_e32 v3, v3, v5
	v_sub_co_u32_e32 v4, vcc, v4, v5
	v_subb_co_u32_e32 v5, vcc, v3, v5, vcc
.LBB15_10:                              ;   in Loop: Header=BB15_4 Depth=1
	s_andn2_saveexec_b64 s[0:1], s[2:3]
	s_cbranch_execz .LBB15_12
; %bb.11:                               ;   in Loop: Header=BB15_4 Depth=1
	v_cvt_f32_u32_e32 v3, s8
	s_sub_i32 s2, 0, s8
	v_rcp_iflag_f32_e32 v3, v3
	v_mul_f32_e32 v3, 0x4f7ffffe, v3
	v_cvt_u32_f32_e32 v3, v3
	v_mul_lo_u32 v4, s2, v3
	v_mul_hi_u32 v4, v3, v4
	v_add_u32_e32 v3, v3, v4
	v_mul_hi_u32 v3, v6, v3
	v_mul_lo_u32 v4, v3, s8
	v_add_u32_e32 v5, 1, v3
	v_sub_u32_e32 v4, v6, v4
	v_subrev_u32_e32 v8, s8, v4
	v_cmp_le_u32_e32 vcc, s8, v4
	v_cndmask_b32_e32 v4, v4, v8, vcc
	v_cndmask_b32_e32 v3, v3, v5, vcc
	v_add_u32_e32 v5, 1, v3
	v_cmp_le_u32_e32 vcc, s8, v4
	v_cndmask_b32_e32 v4, v3, v5, vcc
	v_mov_b32_e32 v5, v2
.LBB15_12:                              ;   in Loop: Header=BB15_4 Depth=1
	s_or_b64 exec, exec, s[0:1]
	v_mul_lo_u32 v3, v5, s8
	v_mul_lo_u32 v10, v4, s44
	v_mad_u64_u32 v[8:9], s[0:1], v4, s8, 0
	v_add3_u32 v3, v9, v10, v3
	v_sub_co_u32_e32 v8, vcc, v6, v8
	v_subb_co_u32_e32 v3, vcc, v7, v3, vcc
	v_mul_lo_u32 v3, v3, s46
	v_mul_lo_u32 v9, v8, s45
	v_mad_u64_u32 v[10:11], s[0:1], v8, s46, 0
	v_add3_u32 v11, v11, v9, v3
	v_mov_b32_e32 v3, s47
	v_subrev_co_u32_e32 v8, vcc, s48, v10
	v_subb_co_u32_e32 v9, vcc, v11, v3, vcc
	v_cmp_lt_i64_e32 vcc, 0, v[8:9]
	v_cndmask_b32_e32 v13, 0, v8, vcc
	v_cndmask_b32_e32 v12, 0, v9, vcc
	v_add_co_u32_e32 v13, vcc, s48, v13
	v_addc_co_u32_e32 v14, vcc, v12, v3, vcc
	v_cmp_ne_u64_e32 vcc, v[13:14], v[10:11]
	v_cndmask_b32_e64 v12, 0, 1, vcc
	v_add_co_u32_e32 v3, vcc, v10, v12
	v_addc_co_u32_e32 v10, vcc, 0, v11, vcc
	v_sub_co_u32_e32 v13, vcc, v13, v3
	v_subb_co_u32_e32 v14, vcc, v14, v10, vcc
	v_or_b32_e32 v3, s56, v14
	v_cmp_ne_u64_e32 vcc, 0, v[2:3]
                                        ; implicit-def: $vgpr10_vgpr11
	s_and_saveexec_b64 s[0:1], vcc
	s_xor_b64 s[2:3], exec, s[0:1]
	s_cbranch_execz .LBB15_14
; %bb.13:                               ;   in Loop: Header=BB15_4 Depth=1
	v_cvt_f32_u32_e32 v3, s57
	v_cvt_f32_u32_e32 v10, s56
	s_sub_u32 s4, 0, s57
	s_subb_u32 s5, 0, s56
	v_mac_f32_e32 v3, 0x4f800000, v10
	v_rcp_f32_e32 v3, v3
	v_mul_f32_e32 v3, 0x5f7ffffc, v3
	v_mul_f32_e32 v10, 0x2f800000, v3
	v_trunc_f32_e32 v10, v10
	v_mac_f32_e32 v3, 0xcf800000, v10
	v_cvt_u32_f32_e32 v10, v10
	v_cvt_u32_f32_e32 v3, v3
	v_readfirstlane_b32 s21, v10
	v_readfirstlane_b32 s0, v3
	s_mul_i32 s1, s4, s21
	s_mul_hi_u32 s36, s4, s0
	s_mul_i32 s35, s5, s0
	s_add_i32 s1, s36, s1
	s_mul_i32 s37, s4, s0
	s_add_i32 s1, s1, s35
	s_mul_i32 s36, s0, s1
	s_mul_hi_u32 s38, s0, s37
	s_mul_hi_u32 s35, s0, s1
	s_add_u32 s36, s38, s36
	s_addc_u32 s35, 0, s35
	s_mul_hi_u32 s39, s21, s37
	s_mul_i32 s37, s21, s37
	s_add_u32 s36, s36, s37
	s_mul_hi_u32 s38, s21, s1
	s_addc_u32 s35, s35, s39
	s_addc_u32 s36, s38, 0
	s_mul_i32 s1, s21, s1
	s_add_u32 s1, s35, s1
	s_addc_u32 s35, 0, s36
	s_add_u32 s36, s0, s1
	s_cselect_b64 s[0:1], -1, 0
	s_cmp_lg_u64 s[0:1], 0
	s_addc_u32 s21, s21, s35
	s_mul_i32 s0, s4, s21
	s_mul_hi_u32 s1, s4, s36
	s_add_i32 s0, s1, s0
	s_mul_i32 s5, s5, s36
	s_add_i32 s0, s0, s5
	s_mul_i32 s4, s4, s36
	s_mul_hi_u32 s5, s21, s4
	s_mul_i32 s35, s21, s4
	s_mul_i32 s38, s36, s0
	s_mul_hi_u32 s4, s36, s4
	s_mul_hi_u32 s37, s36, s0
	s_add_u32 s4, s4, s38
	s_addc_u32 s37, 0, s37
	s_add_u32 s4, s4, s35
	s_mul_hi_u32 s1, s21, s0
	s_addc_u32 s4, s37, s5
	s_addc_u32 s1, s1, 0
	s_mul_i32 s0, s21, s0
	s_add_u32 s0, s4, s0
	s_addc_u32 s4, 0, s1
	s_add_u32 s5, s36, s0
	s_cselect_b64 s[0:1], -1, 0
	s_cmp_lg_u64 s[0:1], 0
	s_addc_u32 s4, s21, s4
	v_mad_u64_u32 v[10:11], s[0:1], v13, s4, 0
	v_mul_hi_u32 v3, v13, s5
	v_mad_u64_u32 v[15:16], s[0:1], v14, s4, 0
	v_add_co_u32_e32 v3, vcc, v3, v10
	v_addc_co_u32_e32 v17, vcc, 0, v11, vcc
	v_mad_u64_u32 v[10:11], s[0:1], v14, s5, 0
	v_add_co_u32_e32 v3, vcc, v3, v10
	v_addc_co_u32_e32 v3, vcc, v17, v11, vcc
	v_addc_co_u32_e32 v10, vcc, 0, v16, vcc
	v_add_co_u32_e32 v3, vcc, v3, v15
	v_addc_co_u32_e32 v15, vcc, 0, v10, vcc
	v_mul_lo_u32 v16, s56, v3
	v_mul_lo_u32 v17, s57, v15
	v_mad_u64_u32 v[10:11], s[0:1], s57, v3, 0
	v_add3_u32 v11, v11, v17, v16
	v_sub_u32_e32 v16, v14, v11
	v_mov_b32_e32 v17, s56
	v_sub_co_u32_e32 v10, vcc, v13, v10
	v_subb_co_u32_e64 v13, s[0:1], v16, v17, vcc
	v_subrev_co_u32_e64 v16, s[0:1], s57, v10
	v_subbrev_co_u32_e64 v13, s[0:1], 0, v13, s[0:1]
	v_cmp_le_u32_e64 s[0:1], s56, v13
	v_cndmask_b32_e64 v17, 0, -1, s[0:1]
	v_cmp_le_u32_e64 s[0:1], s57, v16
	v_cndmask_b32_e64 v16, 0, -1, s[0:1]
	v_cmp_eq_u32_e64 s[0:1], s56, v13
	v_cndmask_b32_e64 v13, v17, v16, s[0:1]
	v_add_co_u32_e64 v16, s[0:1], 2, v3
	v_subb_co_u32_e32 v11, vcc, v14, v11, vcc
	v_addc_co_u32_e64 v17, s[0:1], 0, v15, s[0:1]
	v_cmp_le_u32_e32 vcc, s56, v11
	v_add_co_u32_e64 v18, s[0:1], 1, v3
	v_cndmask_b32_e64 v14, 0, -1, vcc
	v_cmp_le_u32_e32 vcc, s57, v10
	v_addc_co_u32_e64 v19, s[0:1], 0, v15, s[0:1]
	v_cndmask_b32_e64 v10, 0, -1, vcc
	v_cmp_eq_u32_e32 vcc, s56, v11
	v_cmp_ne_u32_e64 s[0:1], 0, v13
	v_cndmask_b32_e32 v10, v14, v10, vcc
	v_cndmask_b32_e64 v13, v19, v17, s[0:1]
	v_cmp_ne_u32_e32 vcc, 0, v10
	v_cndmask_b32_e64 v10, v18, v16, s[0:1]
	v_cndmask_b32_e32 v11, v15, v13, vcc
	v_cndmask_b32_e32 v10, v3, v10, vcc
                                        ; implicit-def: $vgpr13
.LBB15_14:                              ;   in Loop: Header=BB15_4 Depth=1
	s_andn2_saveexec_b64 s[0:1], s[2:3]
	s_cbranch_execz .LBB15_16
; %bb.15:                               ;   in Loop: Header=BB15_4 Depth=1
	v_cvt_f32_u32_e32 v3, s57
	s_sub_i32 s2, 0, s57
	v_rcp_iflag_f32_e32 v3, v3
	v_mul_f32_e32 v3, 0x4f7ffffe, v3
	v_cvt_u32_f32_e32 v3, v3
	v_mul_lo_u32 v10, s2, v3
	v_mul_hi_u32 v10, v3, v10
	v_add_u32_e32 v3, v3, v10
	v_mul_hi_u32 v3, v13, v3
	v_mul_lo_u32 v10, v3, s57
	v_add_u32_e32 v11, 1, v3
	v_sub_u32_e32 v10, v13, v10
	v_subrev_u32_e32 v13, s57, v10
	v_cmp_le_u32_e32 vcc, s57, v10
	v_cndmask_b32_e32 v10, v10, v13, vcc
	v_cndmask_b32_e32 v3, v3, v11, vcc
	v_add_u32_e32 v11, 1, v3
	v_cmp_le_u32_e32 vcc, s57, v10
	v_cndmask_b32_e32 v10, v3, v11, vcc
	v_mov_b32_e32 v11, v2
.LBB15_16:                              ;   in Loop: Header=BB15_4 Depth=1
	s_or_b64 exec, exec, s[0:1]
	v_mul_lo_u32 v3, v7, s9
	v_mul_lo_u32 v13, v6, s33
	v_mad_u64_u32 v[6:7], s[0:1], v6, s9, 0
	v_add3_u32 v3, v7, v13, v3
	v_sub_co_u32_e32 v6, vcc, v0, v6
	v_subb_co_u32_e32 v3, vcc, v1, v3, vcc
	v_mul_lo_u32 v3, v3, s50
	v_mul_lo_u32 v7, v6, s49
	v_mad_u64_u32 v[13:14], s[0:1], v6, s50, 0
	v_add3_u32 v14, v14, v7, v3
	v_mov_b32_e32 v3, s51
	v_subrev_co_u32_e32 v6, vcc, s52, v13
	v_subb_co_u32_e32 v7, vcc, v14, v3, vcc
	v_cmp_lt_i64_e32 vcc, 0, v[6:7]
	v_cndmask_b32_e32 v16, 0, v6, vcc
	v_cndmask_b32_e32 v15, 0, v7, vcc
	v_add_co_u32_e32 v16, vcc, s52, v16
	v_addc_co_u32_e32 v17, vcc, v15, v3, vcc
	v_cmp_ne_u64_e32 vcc, v[16:17], v[13:14]
	v_cndmask_b32_e64 v15, 0, 1, vcc
	v_add_co_u32_e32 v3, vcc, v13, v15
	v_addc_co_u32_e32 v13, vcc, 0, v14, vcc
	v_sub_co_u32_e32 v16, vcc, v16, v3
	v_subb_co_u32_e32 v17, vcc, v17, v13, vcc
	v_or_b32_e32 v3, s58, v17
	v_cmp_ne_u64_e32 vcc, 0, v[2:3]
                                        ; implicit-def: $vgpr13_vgpr14
	s_and_saveexec_b64 s[0:1], vcc
	s_xor_b64 s[2:3], exec, s[0:1]
	s_cbranch_execz .LBB15_18
; %bb.17:                               ;   in Loop: Header=BB15_4 Depth=1
	v_cvt_f32_u32_e32 v3, s59
	v_cvt_f32_u32_e32 v13, s58
	s_sub_u32 s4, 0, s59
	s_subb_u32 s5, 0, s58
	v_mac_f32_e32 v3, 0x4f800000, v13
	v_rcp_f32_e32 v3, v3
	v_mul_f32_e32 v3, 0x5f7ffffc, v3
	v_mul_f32_e32 v13, 0x2f800000, v3
	v_trunc_f32_e32 v13, v13
	v_mac_f32_e32 v3, 0xcf800000, v13
	v_cvt_u32_f32_e32 v13, v13
	v_cvt_u32_f32_e32 v3, v3
	v_readfirstlane_b32 s21, v13
	v_readfirstlane_b32 s0, v3
	s_mul_i32 s1, s4, s21
	s_mul_hi_u32 s36, s4, s0
	s_mul_i32 s35, s5, s0
	s_add_i32 s1, s36, s1
	s_mul_i32 s37, s4, s0
	s_add_i32 s1, s1, s35
	s_mul_i32 s36, s0, s1
	s_mul_hi_u32 s38, s0, s37
	s_mul_hi_u32 s35, s0, s1
	s_add_u32 s36, s38, s36
	s_addc_u32 s35, 0, s35
	s_mul_hi_u32 s39, s21, s37
	s_mul_i32 s37, s21, s37
	s_add_u32 s36, s36, s37
	s_mul_hi_u32 s38, s21, s1
	s_addc_u32 s35, s35, s39
	s_addc_u32 s36, s38, 0
	s_mul_i32 s1, s21, s1
	s_add_u32 s1, s35, s1
	s_addc_u32 s35, 0, s36
	s_add_u32 s36, s0, s1
	s_cselect_b64 s[0:1], -1, 0
	s_cmp_lg_u64 s[0:1], 0
	s_addc_u32 s21, s21, s35
	s_mul_i32 s0, s4, s21
	s_mul_hi_u32 s1, s4, s36
	s_add_i32 s0, s1, s0
	s_mul_i32 s5, s5, s36
	s_add_i32 s0, s0, s5
	s_mul_i32 s4, s4, s36
	s_mul_hi_u32 s5, s21, s4
	s_mul_i32 s35, s21, s4
	s_mul_i32 s38, s36, s0
	s_mul_hi_u32 s4, s36, s4
	s_mul_hi_u32 s37, s36, s0
	s_add_u32 s4, s4, s38
	s_addc_u32 s37, 0, s37
	s_add_u32 s4, s4, s35
	s_mul_hi_u32 s1, s21, s0
	s_addc_u32 s4, s37, s5
	s_addc_u32 s1, s1, 0
	s_mul_i32 s0, s21, s0
	s_add_u32 s0, s4, s0
	s_addc_u32 s4, 0, s1
	s_add_u32 s5, s36, s0
	s_cselect_b64 s[0:1], -1, 0
	s_cmp_lg_u64 s[0:1], 0
	s_addc_u32 s4, s21, s4
	v_mad_u64_u32 v[13:14], s[0:1], v16, s4, 0
	v_mul_hi_u32 v3, v16, s5
	v_mad_u64_u32 v[18:19], s[0:1], v17, s4, 0
	v_add_co_u32_e32 v3, vcc, v3, v13
	v_addc_co_u32_e32 v20, vcc, 0, v14, vcc
	v_mad_u64_u32 v[13:14], s[0:1], v17, s5, 0
	v_add_co_u32_e32 v3, vcc, v3, v13
	v_addc_co_u32_e32 v3, vcc, v20, v14, vcc
	v_addc_co_u32_e32 v13, vcc, 0, v19, vcc
	v_add_co_u32_e32 v3, vcc, v3, v18
	v_addc_co_u32_e32 v18, vcc, 0, v13, vcc
	v_mul_lo_u32 v19, s58, v3
	v_mul_lo_u32 v20, s59, v18
	v_mad_u64_u32 v[13:14], s[0:1], s59, v3, 0
	v_add3_u32 v14, v14, v20, v19
	v_sub_u32_e32 v19, v17, v14
	v_mov_b32_e32 v20, s58
	v_sub_co_u32_e32 v13, vcc, v16, v13
	v_subb_co_u32_e64 v16, s[0:1], v19, v20, vcc
	v_subrev_co_u32_e64 v19, s[0:1], s59, v13
	v_subbrev_co_u32_e64 v16, s[0:1], 0, v16, s[0:1]
	v_cmp_le_u32_e64 s[0:1], s58, v16
	v_cndmask_b32_e64 v20, 0, -1, s[0:1]
	v_cmp_le_u32_e64 s[0:1], s59, v19
	v_cndmask_b32_e64 v19, 0, -1, s[0:1]
	v_cmp_eq_u32_e64 s[0:1], s58, v16
	v_cndmask_b32_e64 v16, v20, v19, s[0:1]
	v_add_co_u32_e64 v19, s[0:1], 2, v3
	v_subb_co_u32_e32 v14, vcc, v17, v14, vcc
	v_addc_co_u32_e64 v20, s[0:1], 0, v18, s[0:1]
	v_cmp_le_u32_e32 vcc, s58, v14
	v_add_co_u32_e64 v21, s[0:1], 1, v3
	v_cndmask_b32_e64 v17, 0, -1, vcc
	v_cmp_le_u32_e32 vcc, s59, v13
	v_addc_co_u32_e64 v22, s[0:1], 0, v18, s[0:1]
	v_cndmask_b32_e64 v13, 0, -1, vcc
	v_cmp_eq_u32_e32 vcc, s58, v14
	v_cmp_ne_u32_e64 s[0:1], 0, v16
	v_cndmask_b32_e32 v13, v17, v13, vcc
	v_cndmask_b32_e64 v16, v22, v20, s[0:1]
	v_cmp_ne_u32_e32 vcc, 0, v13
	v_cndmask_b32_e64 v13, v21, v19, s[0:1]
	v_cndmask_b32_e32 v14, v18, v16, vcc
	v_cndmask_b32_e32 v13, v3, v13, vcc
                                        ; implicit-def: $vgpr16
.LBB15_18:                              ;   in Loop: Header=BB15_4 Depth=1
	s_andn2_saveexec_b64 s[0:1], s[2:3]
	s_cbranch_execz .LBB15_20
; %bb.19:                               ;   in Loop: Header=BB15_4 Depth=1
	v_cvt_f32_u32_e32 v3, s59
	s_sub_i32 s2, 0, s59
	v_rcp_iflag_f32_e32 v3, v3
	v_mul_f32_e32 v3, 0x4f7ffffe, v3
	v_cvt_u32_f32_e32 v3, v3
	v_mul_lo_u32 v13, s2, v3
	v_mul_hi_u32 v13, v3, v13
	v_add_u32_e32 v3, v3, v13
	v_mul_hi_u32 v3, v16, v3
	v_mul_lo_u32 v13, v3, s59
	v_add_u32_e32 v14, 1, v3
	v_sub_u32_e32 v13, v16, v13
	v_subrev_u32_e32 v16, s59, v13
	v_cmp_le_u32_e32 vcc, s59, v13
	v_cndmask_b32_e32 v13, v13, v16, vcc
	v_cndmask_b32_e32 v3, v3, v14, vcc
	v_add_u32_e32 v14, 1, v3
	v_cmp_le_u32_e32 vcc, s59, v13
	v_cndmask_b32_e32 v13, v3, v14, vcc
	v_mov_b32_e32 v14, v2
.LBB15_20:                              ;   in Loop: Header=BB15_4 Depth=1
	s_or_b64 exec, exec, s[0:1]
	v_add_co_u32_e32 v3, vcc, v10, v12
	v_addc_co_u32_e32 v10, vcc, 0, v11, vcc
	v_mul_lo_u32 v16, v3, s11
	v_mad_u64_u32 v[11:12], s[0:1], v3, s10, v[8:9]
	v_add_co_u32_e32 v3, vcc, v13, v15
	v_addc_co_u32_e32 v9, vcc, 0, v14, vcc
	v_mul_lo_u32 v10, v10, s10
	v_mul_lo_u32 v15, v3, s13
	;; [unrolled: 1-line block ×3, first 2 shown]
	v_mad_u64_u32 v[13:14], s[0:1], v3, s12, v[6:7]
	v_add3_u32 v3, v10, v12, v16
	v_mul_lo_u32 v3, v3, s22
	v_add3_u32 v14, v9, v14, v15
	v_mad_u64_u32 v[9:10], s[0:1], v11, s22, v[13:14]
	v_mul_lo_u32 v7, v11, s23
	v_add_u32_e32 v8, s53, v8
	v_min_i32_e32 v8, s20, v8
	v_cmp_gt_i32_e32 vcc, v8, v11
	v_add3_u32 v10, v3, v10, v7
	v_mov_b32_e32 v12, 0xffffff80
	s_and_saveexec_b64 s[36:37], vcc
	s_cbranch_execz .LBB15_3
; %bb.21:                               ;   in Loop: Header=BB15_4 Depth=1
	v_add_u32_e32 v3, s54, v6
	v_mov_b32_e32 v6, s18
	v_mov_b32_e32 v7, s19
	v_mad_u64_u32 v[6:7], s[0:1], s14, v4, v[6:7]
	v_mul_lo_u32 v12, s14, v5
	v_mul_lo_u32 v4, s15, v4
	v_min_i32_e32 v5, s22, v3
	v_ashrrev_i32_e32 v3, 31, v11
	v_cmp_gt_i32_e32 vcc, v5, v13
	v_add3_u32 v7, v4, v7, v12
	v_mov_b32_e32 v12, 0xffffff80
	s_mov_b64 s[38:39], 0
	s_branch .LBB15_23
.LBB15_22:                              ;   in Loop: Header=BB15_23 Depth=2
	s_or_b64 exec, exec, s[40:41]
	v_add_u32_e32 v11, s6, v11
	v_cmp_ge_i32_e64 s[0:1], v11, v8
	s_or_b64 s[38:39], s[0:1], s[38:39]
	v_ashrrev_i32_e32 v3, 31, v11
	s_andn2_b64 exec, exec, s[38:39]
	s_cbranch_execz .LBB15_2
.LBB15_23:                              ;   Parent Loop BB15_4 Depth=1
                                        ; =>  This Loop Header: Depth=2
                                        ;       Child Loop BB15_25 Depth 3
	s_and_saveexec_b64 s[40:41], vcc
	s_cbranch_execz .LBB15_22
; %bb.24:                               ;   in Loop: Header=BB15_23 Depth=2
	v_ashrrev_i32_e32 v14, 31, v13
	v_mul_lo_u32 v15, v11, s23
	v_mul_lo_u32 v16, v3, s22
	v_mad_u64_u32 v[3:4], s[0:1], v11, s22, v[13:14]
	s_mov_b64 s[42:43], 0
	v_add3_u32 v4, v16, v4, v15
	v_lshlrev_b64 v[14:15], 1, v[3:4]
	v_mov_b32_e32 v16, v13
	v_add_co_u32_e64 v14, s[0:1], v6, v14
	v_addc_co_u32_e64 v15, s[0:1], v7, v15, s[0:1]
.LBB15_25:                              ;   Parent Loop BB15_4 Depth=1
                                        ;     Parent Loop BB15_23 Depth=2
                                        ; =>    This Inner Loop Header: Depth=3
	global_load_ushort v17, v[14:15], off
	v_mov_b32_e32 v20, s29
	v_add_co_u32_e64 v14, s[0:1], s28, v14
	v_lshlrev_b32_e32 v18, 16, v12
	v_addc_co_u32_e64 v15, s[0:1], v15, v20, s[0:1]
	v_add_u32_e32 v16, s7, v16
	v_cmp_ge_i32_e64 s[0:1], v16, v5
	v_mov_b32_e32 v19, s13
	s_waitcnt vmcnt(0)
	v_lshlrev_b32_e32 v20, 16, v17
	v_cmp_gt_f32_e64 s[2:3], v20, v18
	v_cmp_u_f32_e64 s[4:5], v20, v20
	s_or_b64 s[2:3], s[2:3], s[4:5]
	v_cndmask_b32_e64 v9, v9, v3, s[2:3]
	s_or_b64 s[42:43], s[0:1], s[42:43]
	v_add_co_u32_e64 v3, s[0:1], s12, v3
	v_cndmask_b32_e64 v12, v12, v17, s[2:3]
	v_cndmask_b32_e64 v10, v10, v4, s[2:3]
	v_addc_co_u32_e64 v4, s[0:1], v4, v19, s[0:1]
	s_andn2_b64 exec, exec, s[42:43]
	s_cbranch_execnz .LBB15_25
; %bb.26:                               ;   in Loop: Header=BB15_23 Depth=2
	s_or_b64 exec, exec, s[42:43]
	s_branch .LBB15_22
.LBB15_27:
	s_endpgm
	.section	.rodata,"a",@progbits
	.p2align	6, 0x0
	.amdhsa_kernel _ZN2at6native12_GLOBAL__N_121max_pool_forward_nchwIN3c108BFloat16ElEEvT0_PKT_llliiiiiiiiiiPS6_Pl
		.amdhsa_group_segment_fixed_size 0
		.amdhsa_private_segment_fixed_size 0
		.amdhsa_kernarg_size 352
		.amdhsa_user_sgpr_count 6
		.amdhsa_user_sgpr_private_segment_buffer 1
		.amdhsa_user_sgpr_dispatch_ptr 0
		.amdhsa_user_sgpr_queue_ptr 0
		.amdhsa_user_sgpr_kernarg_segment_ptr 1
		.amdhsa_user_sgpr_dispatch_id 0
		.amdhsa_user_sgpr_flat_scratch_init 0
		.amdhsa_user_sgpr_private_segment_size 0
		.amdhsa_uses_dynamic_stack 0
		.amdhsa_system_sgpr_private_segment_wavefront_offset 0
		.amdhsa_system_sgpr_workgroup_id_x 1
		.amdhsa_system_sgpr_workgroup_id_y 0
		.amdhsa_system_sgpr_workgroup_id_z 0
		.amdhsa_system_sgpr_workgroup_info 0
		.amdhsa_system_vgpr_workitem_id 0
		.amdhsa_next_free_vgpr 23
		.amdhsa_next_free_sgpr 60
		.amdhsa_reserve_vcc 1
		.amdhsa_reserve_flat_scratch 0
		.amdhsa_float_round_mode_32 0
		.amdhsa_float_round_mode_16_64 0
		.amdhsa_float_denorm_mode_32 3
		.amdhsa_float_denorm_mode_16_64 3
		.amdhsa_dx10_clamp 1
		.amdhsa_ieee_mode 1
		.amdhsa_fp16_overflow 0
		.amdhsa_exception_fp_ieee_invalid_op 0
		.amdhsa_exception_fp_denorm_src 0
		.amdhsa_exception_fp_ieee_div_zero 0
		.amdhsa_exception_fp_ieee_overflow 0
		.amdhsa_exception_fp_ieee_underflow 0
		.amdhsa_exception_fp_ieee_inexact 0
		.amdhsa_exception_int_div_zero 0
	.end_amdhsa_kernel
	.section	.text._ZN2at6native12_GLOBAL__N_121max_pool_forward_nchwIN3c108BFloat16ElEEvT0_PKT_llliiiiiiiiiiPS6_Pl,"axG",@progbits,_ZN2at6native12_GLOBAL__N_121max_pool_forward_nchwIN3c108BFloat16ElEEvT0_PKT_llliiiiiiiiiiPS6_Pl,comdat
.Lfunc_end15:
	.size	_ZN2at6native12_GLOBAL__N_121max_pool_forward_nchwIN3c108BFloat16ElEEvT0_PKT_llliiiiiiiiiiPS6_Pl, .Lfunc_end15-_ZN2at6native12_GLOBAL__N_121max_pool_forward_nchwIN3c108BFloat16ElEEvT0_PKT_llliiiiiiiiiiPS6_Pl
                                        ; -- End function
	.set _ZN2at6native12_GLOBAL__N_121max_pool_forward_nchwIN3c108BFloat16ElEEvT0_PKT_llliiiiiiiiiiPS6_Pl.num_vgpr, 23
	.set _ZN2at6native12_GLOBAL__N_121max_pool_forward_nchwIN3c108BFloat16ElEEvT0_PKT_llliiiiiiiiiiPS6_Pl.num_agpr, 0
	.set _ZN2at6native12_GLOBAL__N_121max_pool_forward_nchwIN3c108BFloat16ElEEvT0_PKT_llliiiiiiiiiiPS6_Pl.numbered_sgpr, 60
	.set _ZN2at6native12_GLOBAL__N_121max_pool_forward_nchwIN3c108BFloat16ElEEvT0_PKT_llliiiiiiiiiiPS6_Pl.num_named_barrier, 0
	.set _ZN2at6native12_GLOBAL__N_121max_pool_forward_nchwIN3c108BFloat16ElEEvT0_PKT_llliiiiiiiiiiPS6_Pl.private_seg_size, 0
	.set _ZN2at6native12_GLOBAL__N_121max_pool_forward_nchwIN3c108BFloat16ElEEvT0_PKT_llliiiiiiiiiiPS6_Pl.uses_vcc, 1
	.set _ZN2at6native12_GLOBAL__N_121max_pool_forward_nchwIN3c108BFloat16ElEEvT0_PKT_llliiiiiiiiiiPS6_Pl.uses_flat_scratch, 0
	.set _ZN2at6native12_GLOBAL__N_121max_pool_forward_nchwIN3c108BFloat16ElEEvT0_PKT_llliiiiiiiiiiPS6_Pl.has_dyn_sized_stack, 0
	.set _ZN2at6native12_GLOBAL__N_121max_pool_forward_nchwIN3c108BFloat16ElEEvT0_PKT_llliiiiiiiiiiPS6_Pl.has_recursion, 0
	.set _ZN2at6native12_GLOBAL__N_121max_pool_forward_nchwIN3c108BFloat16ElEEvT0_PKT_llliiiiiiiiiiPS6_Pl.has_indirect_call, 0
	.section	.AMDGPU.csdata,"",@progbits
; Kernel info:
; codeLenInByte = 3924
; TotalNumSgprs: 64
; NumVgprs: 23
; ScratchSize: 0
; MemoryBound: 0
; FloatMode: 240
; IeeeMode: 1
; LDSByteSize: 0 bytes/workgroup (compile time only)
; SGPRBlocks: 7
; VGPRBlocks: 5
; NumSGPRsForWavesPerEU: 64
; NumVGPRsForWavesPerEU: 23
; Occupancy: 10
; WaveLimiterHint : 0
; COMPUTE_PGM_RSRC2:SCRATCH_EN: 0
; COMPUTE_PGM_RSRC2:USER_SGPR: 6
; COMPUTE_PGM_RSRC2:TRAP_HANDLER: 0
; COMPUTE_PGM_RSRC2:TGID_X_EN: 1
; COMPUTE_PGM_RSRC2:TGID_Y_EN: 0
; COMPUTE_PGM_RSRC2:TGID_Z_EN: 0
; COMPUTE_PGM_RSRC2:TIDIG_COMP_CNT: 0
	.section	.text._ZN2at6native12_GLOBAL__N_122max_pool_backward_nhwcIddEEvPKT_PKlillliiiiiiiiiiiiiiiPS3_,"axG",@progbits,_ZN2at6native12_GLOBAL__N_122max_pool_backward_nhwcIddEEvPKT_PKlillliiiiiiiiiiiiiiiPS3_,comdat
	.globl	_ZN2at6native12_GLOBAL__N_122max_pool_backward_nhwcIddEEvPKT_PKlillliiiiiiiiiiiiiiiPS3_ ; -- Begin function _ZN2at6native12_GLOBAL__N_122max_pool_backward_nhwcIddEEvPKT_PKlillliiiiiiiiiiiiiiiPS3_
	.p2align	8
	.type	_ZN2at6native12_GLOBAL__N_122max_pool_backward_nhwcIddEEvPKT_PKlillliiiiiiiiiiiiiiiPS3_,@function
_ZN2at6native12_GLOBAL__N_122max_pool_backward_nhwcIddEEvPKT_PKlillliiiiiiiiiiiiiiiPS3_: ; @_ZN2at6native12_GLOBAL__N_122max_pool_backward_nhwcIddEEvPKT_PKlillliiiiiiiiiiiiiiiPS3_
; %bb.0:
	s_load_dword s40, s[4:5], 0x10
	s_load_dwordx4 s[0:3], s[4:5], 0x7c
	s_load_dwordx8 s[12:19], s[4:5], 0x30
	s_load_dwordx8 s[20:27], s[4:5], 0x50
	s_waitcnt lgkmcnt(0)
	v_cvt_f32_u32_e32 v3, s40
	s_lshr_b32 s56, s2, 16
	s_and_b32 s9, s2, 0xffff
	v_mad_u32_u24 v6, v2, s56, v1
	v_rcp_iflag_f32_e32 v3, v3
	s_and_b32 s33, s3, 0xffff
	v_mul_f32_e32 v3, 0x4f7ffffe, v3
	v_cvt_u32_f32_e32 v5, v3
	v_mad_u64_u32 v[3:4], s[2:3], v6, s9, v[0:1]
	s_sub_i32 s2, 0, s40
	v_readfirstlane_b32 s3, v5
	s_mul_i32 s2, s2, s3
	s_mul_hi_u32 s2, s3, s2
	s_add_i32 s3, s3, s2
	s_mul_i32 s2, s26, s9
	s_mul_i32 s28, s2, s56
	;; [unrolled: 1-line block ×3, first 2 shown]
	s_mul_hi_u32 s27, s6, s3
	v_cmp_gt_u32_e32 vcc, s28, v3
	s_and_saveexec_b64 s[2:3], vcc
	s_cbranch_execz .LBB16_3
; %bb.1:
	s_mul_i32 s29, s56, s9
	s_mul_i32 s29, s29, s33
	v_mov_b32_e32 v4, 0
	v_lshl_add_u32 v7, v3, 3, 0
	s_lshl_b32 s30, s29, 3
	s_mov_b64 s[10:11], 0
	v_mov_b32_e32 v5, v4
.LBB16_2:                               ; =>This Inner Loop Header: Depth=1
	v_add_u32_e32 v3, s29, v3
	v_cmp_le_u32_e32 vcc, s28, v3
	ds_write_b64 v7, v[4:5]
	s_or_b64 s[10:11], vcc, s[10:11]
	v_add_u32_e32 v7, s30, v7
	s_andn2_b64 exec, exec, s[10:11]
	s_cbranch_execnz .LBB16_2
.LBB16_3:
	s_or_b64 exec, exec, s[2:3]
	s_load_dwordx4 s[28:31], s[4:5], 0x18
	s_load_dwordx2 s[10:11], s[4:5], 0x28
	s_mov_b32 s38, s1
	s_mov_b32 s36, 0
	s_mov_b64 s[34:35], -1
	s_waitcnt lgkmcnt(0)
	s_add_u32 s1, s30, s1
	s_addc_u32 s2, s31, 0
	s_add_u32 s1, s1, -1
	s_addc_u32 s37, s2, -1
	s_cmp_lg_u64 s[36:37], 0
	s_barrier
	s_cbranch_scc0 .LBB16_60
; %bb.4:
	s_add_u32 s2, s38, 0
	s_addc_u32 s3, 0, 0
	s_xor_b64 s[2:3], s[2:3], 0
	v_cvt_f32_u32_e32 v3, s2
	v_cvt_f32_u32_e32 v4, s3
	s_sub_u32 s36, 0, s2
	s_subb_u32 s39, 0, s3
	v_madmk_f32 v3, v4, 0x4f800000, v3
	v_rcp_f32_e32 v3, v3
	v_mul_f32_e32 v3, 0x5f7ffffc, v3
	v_mul_f32_e32 v4, 0x2f800000, v3
	v_trunc_f32_e32 v4, v4
	v_madmk_f32 v3, v4, 0xcf800000, v3
	v_cvt_u32_f32_e32 v4, v4
	v_cvt_u32_f32_e32 v3, v3
	v_readfirstlane_b32 s41, v4
	v_readfirstlane_b32 s42, v3
	s_mul_i32 s43, s36, s41
	s_mul_hi_u32 s45, s36, s42
	s_mul_i32 s44, s39, s42
	s_add_i32 s43, s45, s43
	s_add_i32 s43, s43, s44
	s_mul_i32 s46, s36, s42
	s_mul_i32 s45, s42, s43
	s_mul_hi_u32 s47, s42, s46
	s_mul_hi_u32 s44, s42, s43
	s_add_u32 s45, s47, s45
	s_addc_u32 s44, 0, s44
	s_mul_hi_u32 s48, s41, s46
	s_mul_i32 s46, s41, s46
	s_add_u32 s45, s45, s46
	s_mul_hi_u32 s47, s41, s43
	s_addc_u32 s44, s44, s48
	s_addc_u32 s45, s47, 0
	s_mul_i32 s43, s41, s43
	s_add_u32 s43, s44, s43
	s_addc_u32 s44, 0, s45
	s_add_u32 s45, s42, s43
	s_cselect_b64 s[42:43], -1, 0
	s_cmp_lg_u64 s[42:43], 0
	s_addc_u32 s41, s41, s44
	s_mul_i32 s42, s36, s41
	s_mul_hi_u32 s43, s36, s45
	s_add_i32 s42, s43, s42
	s_mul_i32 s39, s39, s45
	s_add_i32 s42, s42, s39
	s_mul_i32 s36, s36, s45
	s_mul_hi_u32 s43, s41, s36
	s_mul_i32 s44, s41, s36
	s_mul_i32 s47, s45, s42
	s_mul_hi_u32 s36, s45, s36
	s_mul_hi_u32 s46, s45, s42
	s_add_u32 s36, s36, s47
	s_addc_u32 s46, 0, s46
	s_add_u32 s36, s36, s44
	s_mul_hi_u32 s39, s41, s42
	s_addc_u32 s36, s46, s43
	s_addc_u32 s39, s39, 0
	s_mul_i32 s42, s41, s42
	s_add_u32 s36, s36, s42
	s_addc_u32 s39, 0, s39
	s_add_u32 s44, s45, s36
	s_cselect_b64 s[42:43], -1, 0
	s_cmp_lg_u64 s[42:43], 0
	s_addc_u32 s39, s41, s39
	s_ashr_i32 s42, s37, 31
	s_add_u32 s36, s1, s42
	s_mov_b32 s43, s42
	s_addc_u32 s37, s37, s42
	s_xor_b64 s[36:37], s[36:37], s[42:43]
	s_mul_i32 s45, s36, s39
	s_mul_hi_u32 s46, s36, s44
	s_mul_hi_u32 s41, s36, s39
	s_add_u32 s45, s46, s45
	s_addc_u32 s41, 0, s41
	s_mul_hi_u32 s47, s37, s44
	s_mul_i32 s44, s37, s44
	s_add_u32 s44, s45, s44
	s_mul_hi_u32 s46, s37, s39
	s_addc_u32 s41, s41, s47
	s_addc_u32 s44, s46, 0
	s_mul_i32 s39, s37, s39
	s_add_u32 s39, s41, s39
	s_addc_u32 s41, 0, s44
	s_mul_i32 s44, s2, s41
	s_mul_hi_u32 s45, s2, s39
	s_add_i32 s44, s45, s44
	s_mul_i32 s45, s3, s39
	s_add_i32 s48, s44, s45
	s_sub_i32 s46, s37, s48
	s_mul_i32 s44, s2, s39
	s_sub_u32 s36, s36, s44
	s_cselect_b64 s[44:45], -1, 0
	s_cmp_lg_u64 s[44:45], 0
	s_subb_u32 s49, s46, s3
	s_sub_u32 s50, s36, s2
	s_cselect_b64 s[46:47], -1, 0
	s_cmp_lg_u64 s[46:47], 0
	s_subb_u32 s46, s49, 0
	s_cmp_ge_u32 s46, s3
	s_cselect_b32 s47, -1, 0
	s_cmp_ge_u32 s50, s2
	s_cselect_b32 s49, -1, 0
	s_cmp_eq_u32 s46, s3
	s_cselect_b32 s46, s49, s47
	s_add_u32 s47, s39, 1
	s_addc_u32 s49, s41, 0
	s_add_u32 s50, s39, 2
	s_addc_u32 s51, s41, 0
	s_cmp_lg_u32 s46, 0
	s_cselect_b32 s46, s50, s47
	s_cselect_b32 s47, s51, s49
	s_cmp_lg_u64 s[44:45], 0
	s_subb_u32 s37, s37, s48
	s_cmp_ge_u32 s37, s3
	s_cselect_b32 s44, -1, 0
	s_cmp_ge_u32 s36, s2
	s_cselect_b32 s2, -1, 0
	s_cmp_eq_u32 s37, s3
	s_cselect_b32 s2, s2, s44
	s_cmp_lg_u32 s2, 0
	s_cselect_b32 s3, s47, s41
	s_cselect_b32 s2, s46, s39
	s_xor_b64 s[36:37], s[42:43], 0
	s_xor_b64 s[2:3], s[2:3], s[36:37]
	s_sub_u32 s2, s2, s36
	s_subb_u32 s3, s3, s37
	s_cbranch_execnz .LBB16_6
.LBB16_5:
	v_cvt_f32_u32_e32 v3, s38
	s_sub_i32 s2, 0, s38
	s_mov_b32 s3, 0
	v_rcp_iflag_f32_e32 v3, v3
	v_mul_f32_e32 v3, 0x4f7ffffe, v3
	v_cvt_u32_f32_e32 v3, v3
	v_readfirstlane_b32 s34, v3
	s_mul_i32 s2, s2, s34
	s_mul_hi_u32 s2, s34, s2
	s_add_i32 s34, s34, s2
	s_mul_hi_u32 s2, s1, s34
	s_mul_i32 s35, s2, s38
	s_sub_i32 s1, s1, s35
	s_add_i32 s34, s2, 1
	s_sub_i32 s35, s1, s38
	s_cmp_ge_u32 s1, s38
	s_cselect_b32 s2, s34, s2
	s_cselect_b32 s1, s35, s1
	s_add_i32 s34, s2, 1
	s_cmp_ge_u32 s1, s38
	s_cselect_b32 s2, s34, s2
.LBB16_6:
	s_add_u32 s1, s10, s0
	s_addc_u32 s34, s11, 0
	s_add_u32 s1, s1, -1
	s_mov_b32 s38, 0
	s_addc_u32 s39, s34, -1
	s_cmp_lg_u64 s[38:39], 0
	s_mov_b64 s[34:35], -1
	s_cbranch_scc0 .LBB16_61
; %bb.7:
	s_add_u32 s34, s0, 0
	s_addc_u32 s35, 0, 0
	s_xor_b64 s[36:37], s[34:35], 0
	v_cvt_f32_u32_e32 v3, s36
	v_cvt_f32_u32_e32 v4, s37
	s_sub_u32 s38, 0, s36
	s_subb_u32 s41, 0, s37
	v_madmk_f32 v3, v4, 0x4f800000, v3
	v_rcp_f32_e32 v3, v3
	v_mul_f32_e32 v3, 0x5f7ffffc, v3
	v_mul_f32_e32 v4, 0x2f800000, v3
	v_trunc_f32_e32 v4, v4
	v_madmk_f32 v3, v4, 0xcf800000, v3
	v_cvt_u32_f32_e32 v4, v4
	v_cvt_u32_f32_e32 v3, v3
	v_readfirstlane_b32 s44, v4
	v_readfirstlane_b32 s42, v3
	s_mul_i32 s43, s38, s44
	s_mul_hi_u32 s46, s38, s42
	s_mul_i32 s45, s41, s42
	s_add_i32 s43, s46, s43
	s_add_i32 s43, s43, s45
	s_mul_i32 s47, s38, s42
	s_mul_i32 s46, s42, s43
	s_mul_hi_u32 s48, s42, s47
	s_mul_hi_u32 s45, s42, s43
	s_add_u32 s46, s48, s46
	s_addc_u32 s45, 0, s45
	s_mul_hi_u32 s49, s44, s47
	s_mul_i32 s47, s44, s47
	s_add_u32 s46, s46, s47
	s_mul_hi_u32 s48, s44, s43
	s_addc_u32 s45, s45, s49
	s_addc_u32 s46, s48, 0
	s_mul_i32 s43, s44, s43
	s_add_u32 s43, s45, s43
	s_addc_u32 s45, 0, s46
	s_add_u32 s46, s42, s43
	s_cselect_b64 s[42:43], -1, 0
	s_cmp_lg_u64 s[42:43], 0
	s_addc_u32 s44, s44, s45
	s_mul_i32 s42, s38, s44
	s_mul_hi_u32 s43, s38, s46
	s_add_i32 s42, s43, s42
	s_mul_i32 s41, s41, s46
	s_add_i32 s42, s42, s41
	s_mul_i32 s38, s38, s46
	s_mul_hi_u32 s43, s44, s38
	s_mul_i32 s45, s44, s38
	s_mul_i32 s48, s46, s42
	s_mul_hi_u32 s38, s46, s38
	s_mul_hi_u32 s47, s46, s42
	s_add_u32 s38, s38, s48
	s_addc_u32 s47, 0, s47
	s_add_u32 s38, s38, s45
	s_mul_hi_u32 s41, s44, s42
	s_addc_u32 s38, s47, s43
	s_addc_u32 s41, s41, 0
	s_mul_i32 s42, s44, s42
	s_add_u32 s38, s38, s42
	s_addc_u32 s41, 0, s41
	s_add_u32 s45, s46, s38
	s_cselect_b64 s[42:43], -1, 0
	s_cmp_lg_u64 s[42:43], 0
	s_addc_u32 s41, s44, s41
	s_ashr_i32 s42, s39, 31
	s_add_u32 s38, s1, s42
	s_mov_b32 s43, s42
	s_addc_u32 s39, s39, s42
	s_xor_b64 s[38:39], s[38:39], s[42:43]
	s_mul_i32 s46, s38, s41
	s_mul_hi_u32 s47, s38, s45
	s_mul_hi_u32 s44, s38, s41
	s_add_u32 s46, s47, s46
	s_addc_u32 s44, 0, s44
	s_mul_hi_u32 s48, s39, s45
	s_mul_i32 s45, s39, s45
	s_add_u32 s45, s46, s45
	s_mul_hi_u32 s47, s39, s41
	s_addc_u32 s44, s44, s48
	s_addc_u32 s45, s47, 0
	s_mul_i32 s41, s39, s41
	s_add_u32 s41, s44, s41
	s_addc_u32 s48, 0, s45
	s_mul_i32 s44, s36, s48
	s_mul_hi_u32 s45, s36, s41
	s_add_i32 s44, s45, s44
	s_mul_i32 s45, s37, s41
	s_add_i32 s49, s44, s45
	s_sub_i32 s46, s39, s49
	s_mul_i32 s44, s36, s41
	s_sub_u32 s38, s38, s44
	s_cselect_b64 s[44:45], -1, 0
	s_cmp_lg_u64 s[44:45], 0
	s_subb_u32 s50, s46, s37
	s_sub_u32 s51, s38, s36
	s_cselect_b64 s[46:47], -1, 0
	s_cmp_lg_u64 s[46:47], 0
	s_subb_u32 s46, s50, 0
	s_cmp_ge_u32 s46, s37
	s_cselect_b32 s47, -1, 0
	s_cmp_ge_u32 s51, s36
	s_cselect_b32 s50, -1, 0
	s_cmp_eq_u32 s46, s37
	s_cselect_b32 s46, s50, s47
	s_add_u32 s47, s41, 1
	s_addc_u32 s50, s48, 0
	s_add_u32 s51, s41, 2
	s_addc_u32 s52, s48, 0
	s_cmp_lg_u32 s46, 0
	s_cselect_b32 s46, s51, s47
	s_cselect_b32 s47, s52, s50
	s_cmp_lg_u64 s[44:45], 0
	s_subb_u32 s39, s39, s49
	s_cmp_ge_u32 s39, s37
	s_cselect_b32 s44, -1, 0
	s_cmp_ge_u32 s38, s36
	s_cselect_b32 s36, -1, 0
	s_cmp_eq_u32 s39, s37
	s_cselect_b32 s36, s36, s44
	s_cmp_lg_u32 s36, 0
	s_cselect_b32 s37, s47, s48
	s_cselect_b32 s36, s46, s41
	s_xor_b64 s[38:39], s[42:43], 0
	s_xor_b64 s[36:37], s[36:37], s[38:39]
	s_sub_u32 s36, s36, s38
	s_subb_u32 s37, s37, s39
	s_cbranch_execnz .LBB16_9
.LBB16_8:
	v_cvt_f32_u32_e32 v3, s0
	s_sub_i32 s34, 0, s0
	s_mov_b32 s37, 0
	v_rcp_iflag_f32_e32 v3, v3
	v_mul_f32_e32 v3, 0x4f7ffffe, v3
	v_cvt_u32_f32_e32 v3, v3
	v_readfirstlane_b32 s35, v3
	s_mul_i32 s34, s34, s35
	s_mul_hi_u32 s34, s35, s34
	s_add_i32 s35, s35, s34
	s_mul_hi_u32 s34, s1, s35
	s_mul_i32 s36, s34, s0
	s_sub_i32 s1, s1, s36
	s_add_i32 s35, s34, 1
	s_sub_i32 s36, s1, s0
	s_cmp_ge_u32 s1, s0
	s_cselect_b32 s34, s35, s34
	s_cselect_b32 s1, s36, s1
	s_add_i32 s35, s34, 1
	s_cmp_ge_u32 s1, s0
	s_cselect_b32 s36, s35, s34
.LBB16_9:
	s_mul_i32 s8, s8, s2
	v_add_u32_e32 v27, s8, v2
	s_bfe_i64 s[0:1], s[2:3], 0x200000
	v_ashrrev_i32_e32 v3, 31, v27
	v_mov_b32_e32 v4, s1
	v_add_co_u32_e32 v2, vcc, s0, v27
	v_addc_co_u32_e32 v3, vcc, v4, v3, vcc
	v_cmp_gt_i64_e32 vcc, s[30:31], v[2:3]
	v_mov_b32_e32 v4, s30
	v_cndmask_b32_e32 v28, v4, v2, vcc
	v_cmp_lt_i32_e32 vcc, v27, v28
	s_and_saveexec_b64 s[0:1], vcc
	s_cbranch_execz .LBB16_59
; %bb.10:
	s_mul_i32 s7, s7, s36
	v_add_u32_e32 v29, s7, v1
	s_bfe_i64 s[0:1], s[36:37], 0x200000
	v_mov_b32_e32 v3, s1
	v_add_co_u32_e32 v1, vcc, s0, v29
	s_load_dwordx4 s[0:3], s[4:5], 0x0
	s_load_dwordx2 s[34:35], s[4:5], 0x70
	s_mul_i32 s4, s27, s40
	s_sub_i32 s4, s6, s4
	s_add_i32 s5, s27, 1
	s_sub_i32 s7, s4, s40
	s_cmp_ge_u32 s4, s40
	s_cselect_b32 s5, s5, s27
	s_cselect_b32 s4, s7, s4
	s_add_i32 s7, s5, 1
	s_cmp_ge_u32 s4, s40
	s_cselect_b32 s7, s7, s5
	s_mul_i32 s5, s30, s29
	s_mul_hi_u32 s8, s30, s28
	v_ashrrev_i32_e32 v2, 31, v29
	s_add_i32 s5, s8, s5
	s_mul_i32 s8, s31, s28
	v_addc_co_u32_e32 v2, vcc, v3, v2, vcc
	s_mul_i32 s4, s7, s40
	s_add_i32 s5, s5, s8
	s_mul_i32 s8, s30, s28
	v_cmp_gt_i64_e32 vcc, s[10:11], v[1:2]
	s_sub_i32 s6, s6, s4
	s_mul_i32 s11, s8, s11
	s_mul_hi_u32 s27, s8, s10
	s_ashr_i32 s4, s6, 31
	s_add_i32 s11, s27, s11
	s_mul_i32 s5, s5, s10
	s_mul_i32 s8, s8, s10
	s_add_i32 s5, s11, s5
	s_mul_i32 s4, s8, s4
	s_mul_hi_u32 s11, s8, s6
	s_mul_i32 s5, s5, s6
	s_add_i32 s4, s11, s4
	s_add_i32 s5, s4, s5
	s_mul_i32 s4, s8, s6
	s_lshl_b64 s[4:5], s[4:5], 3
	s_waitcnt lgkmcnt(0)
	s_add_u32 s11, s34, s4
	s_mul_i32 s4, s13, s12
	s_mul_i32 s4, s4, s6
	s_addc_u32 s57, s35, s5
	s_ashr_i32 s5, s4, 31
	s_mul_i32 s5, s28, s5
	s_mul_hi_u32 s6, s28, s4
	s_add_i32 s5, s6, s5
	s_mul_i32 s6, s29, s4
	s_add_i32 s5, s5, s6
	s_mul_i32 s4, s28, s4
	s_lshl_b64 s[4:5], s[4:5], 3
	s_add_u32 s58, s2, s4
	s_addc_u32 s59, s3, s5
	s_add_u32 s60, s0, s4
	s_addc_u32 s61, s1, s5
	s_abs_i32 s64, s16
	v_cvt_f32_u32_e32 v2, s64
	v_mov_b32_e32 v3, s10
	s_abs_i32 s66, s17
	v_cndmask_b32_e32 v30, v3, v1, vcc
	v_cvt_f32_u32_e32 v3, s66
	v_rcp_iflag_f32_e32 v4, v2
	s_mul_i32 s0, s7, s9
	v_add_u32_e32 v1, s0, v0
	v_rcp_iflag_f32_e32 v3, v3
	v_mul_f32_e32 v4, 0x4f7ffffe, v4
	v_cvt_u32_f32_e32 v4, v4
	s_add_i32 s0, s14, -1
	s_mul_i32 s62, s20, s0
	s_add_i32 s0, s15, -1
	s_mul_i32 s65, s21, s0
	s_sub_i32 s0, 0, s64
	v_mul_f32_e32 v3, 0x4f7ffffe, v3
	v_cvt_u32_f32_e32 v3, v3
	v_mul_lo_u32 v5, s0, v4
	s_sub_i32 s2, 0, s66
	v_mul_lo_u32 v33, s22, v1
	v_mul_lo_u32 v7, s2, v3
	v_mul_hi_u32 v5, v4, v5
	s_add_i32 s2, s7, s25
	v_ashrrev_i32_e32 v2, 31, v1
	v_mul_hi_u32 v7, v3, v7
	v_add_u32_e32 v31, v4, v5
	v_mul_lo_u32 v4, s26, v6
	s_mul_i32 s2, s2, s9
	v_add_u32_e32 v32, v3, v7
	v_cmp_gt_i64_e64 s[0:1], s[28:29], v[1:2]
	v_mul_lo_u32 v3, v4, s9
	s_mul_i32 s68, s25, s9
	v_add_u32_e32 v34, s2, v0
	v_lshlrev_b32_e32 v0, 3, v0
	v_lshlrev_b32_e32 v3, 3, v3
	s_not_b32 s63, s62
	v_cmp_lt_i32_e32 vcc, v29, v30
	s_not_b32 s67, s65
	s_ashr_i32 s69, s16, 31
	s_ashr_i32 s70, s17, 31
	s_mul_i32 s22, s68, s22
	v_add3_u32 v0, v3, v0, 0
	s_lshl_b32 s25, s9, 3
	s_mov_b64 s[14:15], 0
	v_mov_b32_e32 v3, 0
                                        ; implicit-def: $vgpr5_vgpr6
                                        ; implicit-def: $vgpr7_vgpr8
                                        ; implicit-def: $vgpr9_vgpr10
                                        ; implicit-def: $vgpr11_vgpr12
	s_branch .LBB16_13
.LBB16_11:                              ;   in Loop: Header=BB16_13 Depth=1
	s_or_b64 exec, exec, s[20:21]
.LBB16_12:                              ;   in Loop: Header=BB16_13 Depth=1
	s_or_b64 exec, exec, s[16:17]
	v_add_u32_e32 v27, s33, v27
	v_cmp_ge_i32_e64 s[2:3], v27, v28
	s_or_b64 s[14:15], s[2:3], s[14:15]
	s_andn2_b64 exec, exec, s[14:15]
	s_cbranch_execz .LBB16_59
.LBB16_13:                              ; =>This Loop Header: Depth=1
                                        ;     Child Loop BB16_19 Depth 2
                                        ;       Child Loop BB16_28 Depth 3
                                        ;         Child Loop BB16_31 Depth 4
                                        ;           Child Loop BB16_34 Depth 5
                                        ;       Child Loop BB16_40 Depth 3
                                        ;       Child Loop BB16_51 Depth 3
                                        ;       Child Loop BB16_57 Depth 3
	v_add_u32_e32 v4, s18, v27
	v_cmp_lt_i32_e64 s[2:3], s62, v4
	v_mov_b32_e32 v35, 0
	s_and_saveexec_b64 s[4:5], s[2:3]
	s_cbranch_execz .LBB16_15
; %bb.14:                               ;   in Loop: Header=BB16_13 Depth=1
	v_add_u32_e32 v13, s63, v4
	v_sub_u32_e32 v14, 0, v13
	v_max_i32_e32 v14, v13, v14
	v_mul_hi_u32 v15, v14, v31
	v_ashrrev_i32_e32 v13, 31, v13
	v_xor_b32_e32 v13, s69, v13
	v_mul_lo_u32 v16, v15, s64
	v_add_u32_e32 v17, 1, v15
	v_sub_u32_e32 v14, v14, v16
	v_cmp_le_u32_e64 s[2:3], s64, v14
	v_subrev_u32_e32 v16, s64, v14
	v_cndmask_b32_e64 v15, v15, v17, s[2:3]
	v_cndmask_b32_e64 v14, v14, v16, s[2:3]
	v_add_u32_e32 v16, 1, v15
	v_cmp_le_u32_e64 s[2:3], s64, v14
	v_cndmask_b32_e64 v14, v15, v16, s[2:3]
	v_xor_b32_e32 v14, v14, v13
	v_sub_u32_e32 v13, v14, v13
	v_add_u32_e32 v35, 1, v13
.LBB16_15:                              ;   in Loop: Header=BB16_13 Depth=1
	s_or_b64 exec, exec, s[4:5]
	s_and_saveexec_b64 s[16:17], vcc
	s_cbranch_execz .LBB16_12
; %bb.16:                               ;   in Loop: Header=BB16_13 Depth=1
	v_sub_u32_e32 v13, 0, v4
	v_max_i32_e32 v13, v4, v13
	v_mul_hi_u32 v14, v13, v31
	v_ashrrev_i32_e32 v4, 31, v4
	v_xor_b32_e32 v4, s69, v4
	v_mul_lo_u32 v37, v27, s10
	v_mul_lo_u32 v15, v14, s64
	v_add_u32_e32 v16, 1, v14
	s_mov_b64 s[20:21], 0
	v_mov_b32_e32 v41, v29
	v_sub_u32_e32 v13, v13, v15
	v_cmp_le_u32_e64 s[2:3], s64, v13
	v_subrev_u32_e32 v15, s64, v13
	v_cndmask_b32_e64 v14, v14, v16, s[2:3]
	v_cndmask_b32_e64 v13, v13, v15, s[2:3]
	v_add_u32_e32 v15, 1, v14
	v_cmp_le_u32_e64 s[2:3], s64, v13
	v_cndmask_b32_e64 v13, v14, v15, s[2:3]
	v_xor_b32_e32 v13, v13, v4
	v_sub_u32_e32 v4, v13, v4
	v_mul_lo_u32 v13, v35, s23
	v_add_u32_e32 v4, 1, v4
	v_min_i32_e32 v36, s12, v4
	v_sub_u32_e32 v14, v36, v35
	v_cmp_gt_i32_e64 s[8:9], 3, v14
	v_ashrrev_i32_e32 v14, 31, v13
	v_lshlrev_b64 v[14:15], 3, v[13:14]
	v_add_u32_e32 v4, 1, v35
	v_mov_b32_e32 v16, s59
	v_add_co_u32_e64 v38, s[4:5], s58, v14
	v_addc_co_u32_e64 v39, s[4:5], v16, v15, s[4:5]
	v_add_u32_e32 v16, s23, v13
	v_mul_lo_u32 v40, s23, v4
	v_ashrrev_i32_e32 v17, 31, v16
	v_cmp_eq_u32_e64 s[6:7], v4, v36
	v_lshlrev_b64 v[16:17], 3, v[16:17]
	v_cmp_gt_i32_e64 s[2:3], v36, v35
	v_cmp_lt_i32_e64 s[4:5], v4, v36
	s_xor_b64 s[26:27], s[6:7], -1
	s_xor_b64 s[30:31], s[8:9], -1
	s_branch .LBB16_19
.LBB16_17:                              ;   in Loop: Header=BB16_19 Depth=2
	s_or_b64 exec, exec, s[34:35]
.LBB16_18:                              ;   in Loop: Header=BB16_19 Depth=2
	s_or_b64 exec, exec, s[8:9]
	v_add_u32_e32 v41, s56, v41
	v_cmp_ge_i32_e64 s[6:7], v41, v30
	s_or_b64 s[20:21], s[6:7], s[20:21]
	s_andn2_b64 exec, exec, s[20:21]
	s_cbranch_execz .LBB16_11
.LBB16_19:                              ;   Parent Loop BB16_13 Depth=1
                                        ; =>  This Loop Header: Depth=2
                                        ;       Child Loop BB16_28 Depth 3
                                        ;         Child Loop BB16_31 Depth 4
                                        ;           Child Loop BB16_34 Depth 5
                                        ;       Child Loop BB16_40 Depth 3
                                        ;       Child Loop BB16_51 Depth 3
	;; [unrolled: 1-line block ×3, first 2 shown]
	v_add_u32_e32 v18, s19, v41
	v_cmp_lt_i32_e64 s[6:7], s65, v18
	v_mov_b32_e32 v4, 0
	s_and_saveexec_b64 s[8:9], s[6:7]
	s_cbranch_execz .LBB16_21
; %bb.20:                               ;   in Loop: Header=BB16_19 Depth=2
	v_add_u32_e32 v4, s67, v18
	v_sub_u32_e32 v19, 0, v4
	v_max_i32_e32 v19, v4, v19
	v_mul_hi_u32 v20, v19, v32
	v_ashrrev_i32_e32 v4, 31, v4
	v_xor_b32_e32 v4, s70, v4
	v_mul_lo_u32 v21, v20, s66
	v_add_u32_e32 v22, 1, v20
	v_sub_u32_e32 v19, v19, v21
	v_cmp_le_u32_e64 s[6:7], s66, v19
	v_subrev_u32_e32 v21, s66, v19
	v_cndmask_b32_e64 v20, v20, v22, s[6:7]
	v_cndmask_b32_e64 v19, v19, v21, s[6:7]
	v_add_u32_e32 v21, 1, v20
	v_cmp_le_u32_e64 s[6:7], s66, v19
	v_cndmask_b32_e64 v19, v20, v21, s[6:7]
	v_xor_b32_e32 v19, v19, v4
	v_sub_u32_e32 v4, v19, v4
	v_add_u32_e32 v4, 1, v4
.LBB16_21:                              ;   in Loop: Header=BB16_19 Depth=2
	s_or_b64 exec, exec, s[8:9]
	v_sub_u32_e32 v19, 0, v18
	v_max_i32_e32 v19, v18, v19
	v_mul_hi_u32 v20, v19, v32
	v_ashrrev_i32_e32 v18, 31, v18
	v_xor_b32_e32 v18, s70, v18
	v_mul_lo_u32 v21, v20, s66
	v_add_u32_e32 v22, 1, v20
	v_sub_u32_e32 v19, v19, v21
	v_cmp_le_u32_e64 s[6:7], s66, v19
	v_subrev_u32_e32 v21, s66, v19
	v_cndmask_b32_e64 v20, v20, v22, s[6:7]
	v_cndmask_b32_e64 v19, v19, v21, s[6:7]
	v_add_u32_e32 v21, 1, v20
	v_cmp_le_u32_e64 s[6:7], s66, v19
	v_cndmask_b32_e64 v19, v20, v21, s[6:7]
	v_xor_b32_e32 v19, v19, v18
	v_sub_u32_e32 v18, v19, v18
	v_add_u32_e32 v18, 1, v18
	v_min_i32_e32 v25, s13, v18
	v_add_u32_e32 v19, 1, v4
	v_cmp_ne_u32_e64 s[6:7], v19, v25
	v_add_u32_e32 v18, v41, v37
	s_or_b64 s[6:7], s[26:27], s[6:7]
	s_and_saveexec_b64 s[8:9], s[6:7]
	s_xor_b64 s[34:35], exec, s[8:9]
	s_cbranch_execz .LBB16_53
; %bb.22:                               ;   in Loop: Header=BB16_19 Depth=2
	v_sub_u32_e32 v20, v25, v4
	v_cmp_lt_i32_e64 s[6:7], 2, v20
	s_or_b64 s[6:7], s[30:31], s[6:7]
	s_and_saveexec_b64 s[8:9], s[6:7]
	s_xor_b64 s[36:37], exec, s[8:9]
	s_cbranch_execnz .LBB16_25
; %bb.23:                               ;   in Loop: Header=BB16_19 Depth=2
	s_andn2_saveexec_b64 s[36:37], s[36:37]
	s_cbranch_execnz .LBB16_37
.LBB16_24:                              ;   in Loop: Header=BB16_19 Depth=2
	s_or_b64 exec, exec, s[36:37]
	s_and_saveexec_b64 s[36:37], s[0:1]
	s_cbranch_execnz .LBB16_50
	s_branch .LBB16_52
.LBB16_25:                              ;   in Loop: Header=BB16_19 Depth=2
	s_and_saveexec_b64 s[38:39], s[2:3]
	s_cbranch_execz .LBB16_36
; %bb.26:                               ;   in Loop: Header=BB16_19 Depth=2
	v_mad_u64_u32 v[20:21], s[8:9], s24, v4, v[13:14]
	v_cmp_gt_i32_e64 s[6:7], v25, v4
	v_ashrrev_i32_e32 v19, 31, v18
	s_mov_b64 s[40:41], 0
	v_mov_b32_e32 v26, v35
	s_branch .LBB16_28
.LBB16_27:                              ;   in Loop: Header=BB16_28 Depth=3
	s_or_b64 exec, exec, s[42:43]
	v_add_u32_e32 v26, 1, v26
	v_cmp_ge_i32_e64 s[8:9], v26, v36
	s_or_b64 s[40:41], s[8:9], s[40:41]
	v_add_u32_e32 v20, s23, v20
	s_andn2_b64 exec, exec, s[40:41]
	s_cbranch_execz .LBB16_36
.LBB16_28:                              ;   Parent Loop BB16_13 Depth=1
                                        ;     Parent Loop BB16_19 Depth=2
                                        ; =>    This Loop Header: Depth=3
                                        ;         Child Loop BB16_31 Depth 4
                                        ;           Child Loop BB16_34 Depth 5
	s_and_saveexec_b64 s[42:43], s[6:7]
	s_cbranch_execz .LBB16_27
; %bb.29:                               ;   in Loop: Header=BB16_28 Depth=3
	v_mul_lo_u32 v21, v26, s23
	v_mov_b32_e32 v23, s59
	s_mov_b64 s[44:45], 0
	v_mov_b32_e32 v44, v20
	v_ashrrev_i32_e32 v22, 31, v21
	v_lshlrev_b64 v[21:22], 3, v[21:22]
	v_mov_b32_e32 v45, v4
	v_add_co_u32_e64 v42, s[8:9], s58, v21
	v_addc_co_u32_e64 v43, s[8:9], v23, v22, s[8:9]
	s_branch .LBB16_31
.LBB16_30:                              ;   in Loop: Header=BB16_31 Depth=4
	s_or_b64 exec, exec, s[46:47]
	v_add_u32_e32 v45, 1, v45
	v_cmp_ge_i32_e64 s[8:9], v45, v25
	s_or_b64 s[44:45], s[8:9], s[44:45]
	v_add_u32_e32 v44, s24, v44
	s_andn2_b64 exec, exec, s[44:45]
	s_cbranch_execz .LBB16_27
.LBB16_31:                              ;   Parent Loop BB16_13 Depth=1
                                        ;     Parent Loop BB16_19 Depth=2
                                        ;       Parent Loop BB16_28 Depth=3
                                        ; =>      This Loop Header: Depth=4
                                        ;           Child Loop BB16_34 Depth 5
	s_and_saveexec_b64 s[46:47], s[0:1]
	s_cbranch_execz .LBB16_30
; %bb.32:                               ;   in Loop: Header=BB16_31 Depth=4
	v_mul_lo_u32 v21, v45, s24
	s_mov_b64 s[48:49], 0
	v_mov_b32_e32 v48, v0
	v_mov_b32_e32 v23, v33
	v_ashrrev_i32_e32 v22, 31, v21
	v_lshlrev_b64 v[21:22], 3, v[21:22]
	v_add_co_u32_e64 v46, s[8:9], v42, v21
	v_addc_co_u32_e64 v47, s[8:9], v43, v22, s[8:9]
	v_mov_b32_e32 v21, v34
	s_branch .LBB16_34
.LBB16_33:                              ;   in Loop: Header=BB16_34 Depth=5
	s_or_b64 exec, exec, s[50:51]
	v_ashrrev_i32_e32 v22, 31, v21
	v_cmp_le_i64_e64 s[8:9], s[28:29], v[21:22]
	v_add_u32_e32 v23, s22, v23
	v_add_u32_e32 v21, s68, v21
	s_or_b64 s[48:49], s[8:9], s[48:49]
	v_add_u32_e32 v48, s25, v48
	s_andn2_b64 exec, exec, s[48:49]
	s_cbranch_execz .LBB16_30
.LBB16_34:                              ;   Parent Loop BB16_13 Depth=1
                                        ;     Parent Loop BB16_19 Depth=2
                                        ;       Parent Loop BB16_28 Depth=3
                                        ;         Parent Loop BB16_31 Depth=4
                                        ; =>        This Inner Loop Header: Depth=5
	v_ashrrev_i32_e32 v24, 31, v23
	v_lshlrev_b64 v[49:50], 3, v[23:24]
	v_add_co_u32_e64 v49, s[8:9], v46, v49
	v_addc_co_u32_e64 v50, s[8:9], v47, v50, s[8:9]
	global_load_dwordx2 v[49:50], v[49:50], off
	s_waitcnt vmcnt(0)
	v_cmp_eq_u64_e64 s[8:9], v[49:50], v[18:19]
	s_and_saveexec_b64 s[50:51], s[8:9]
	s_cbranch_execz .LBB16_33
; %bb.35:                               ;   in Loop: Header=BB16_34 Depth=5
	v_add_u32_e32 v49, v44, v23
	v_ashrrev_i32_e32 v50, 31, v49
	v_lshlrev_b64 v[49:50], 3, v[49:50]
	v_mov_b32_e32 v22, s61
	v_add_co_u32_e64 v49, s[8:9], s60, v49
	v_addc_co_u32_e64 v50, s[8:9], v22, v50, s[8:9]
	global_load_dwordx2 v[49:50], v[49:50], off
	ds_read_b64 v[51:52], v48
	s_waitcnt vmcnt(0) lgkmcnt(0)
	v_add_f64 v[49:50], v[49:50], v[51:52]
	ds_write_b64 v48, v[49:50]
	s_branch .LBB16_33
.LBB16_36:                              ;   in Loop: Header=BB16_19 Depth=2
	s_or_b64 exec, exec, s[38:39]
                                        ; implicit-def: $vgpr25
                                        ; implicit-def: $vgpr4
                                        ; implicit-def: $vgpr19
	s_andn2_saveexec_b64 s[36:37], s[36:37]
	s_cbranch_execz .LBB16_24
.LBB16_37:                              ;   in Loop: Header=BB16_19 Depth=2
	s_and_saveexec_b64 s[38:39], s[0:1]
	s_cbranch_execz .LBB16_49
; %bb.38:                               ;   in Loop: Header=BB16_19 Depth=2
	v_mul_lo_u32 v20, v4, s24
	v_cmp_gt_i32_e64 s[6:7], v25, v4
	v_cmp_lt_i32_e64 s[8:9], v19, v25
	s_and_b64 s[40:41], s[2:3], s[6:7]
	v_add_u32_e32 v22, s24, v20
	v_ashrrev_i32_e32 v21, 31, v20
	v_ashrrev_i32_e32 v23, 31, v22
	v_add_u32_e32 v4, v40, v22
	v_add_u32_e32 v42, v40, v20
	;; [unrolled: 1-line block ×4, first 2 shown]
	v_lshlrev_b64 v[19:20], 3, v[20:21]
	v_lshlrev_b64 v[21:22], 3, v[22:23]
	s_and_b64 s[42:43], s[2:3], s[8:9]
	s_and_b64 s[44:45], s[4:5], s[6:7]
	;; [unrolled: 1-line block ×3, first 2 shown]
	s_mov_b64 s[46:47], 0
	v_mov_b32_e32 v45, v0
	v_mov_b32_e32 v23, v34
	;; [unrolled: 1-line block ×3, first 2 shown]
	s_branch .LBB16_40
.LBB16_39:                              ;   in Loop: Header=BB16_40 Depth=3
	s_or_b64 exec, exec, s[54:55]
	s_waitcnt vmcnt(0)
	v_add_f64 v[46:47], v[11:12], 0
	ds_read_b64 v[50:51], v45
	v_ashrrev_i32_e32 v24, 31, v23
	v_add_u32_e32 v25, s22, v25
	v_cndmask_b32_e64 v47, 0, v47, s[48:49]
	v_cndmask_b32_e64 v46, 0, v46, s[48:49]
	v_add_f64 v[48:49], v[46:47], v[9:10]
	v_cndmask_b32_e64 v47, v47, v49, s[52:53]
	v_cndmask_b32_e64 v46, v46, v48, s[52:53]
	v_add_f64 v[48:49], v[46:47], v[7:8]
	v_cndmask_b32_e64 v47, v47, v49, s[50:51]
	v_cndmask_b32_e64 v46, v46, v48, s[50:51]
	v_add_f64 v[48:49], v[46:47], v[5:6]
	v_cndmask_b32_e64 v47, v47, v49, s[6:7]
	v_cndmask_b32_e64 v46, v46, v48, s[6:7]
	s_waitcnt lgkmcnt(0)
	v_add_f64 v[46:47], v[46:47], v[50:51]
	v_cmp_le_i64_e64 s[6:7], s[28:29], v[23:24]
	v_add_u32_e32 v23, s68, v23
	s_or_b64 s[46:47], s[6:7], s[46:47]
	ds_write_b64 v45, v[46:47]
	v_add_u32_e32 v45, s25, v45
	s_andn2_b64 exec, exec, s[46:47]
	s_cbranch_execz .LBB16_48
.LBB16_40:                              ;   Parent Loop BB16_13 Depth=1
                                        ;     Parent Loop BB16_19 Depth=2
                                        ; =>    This Inner Loop Header: Depth=3
	v_ashrrev_i32_e32 v26, 31, v25
	v_lshlrev_b64 v[46:47], 3, v[25:26]
	v_mov_b32_e32 v26, s59
	v_add_co_u32_e64 v24, s[6:7], s58, v46
	v_addc_co_u32_e64 v26, s[6:7], v26, v47, s[6:7]
	v_add_co_u32_e64 v46, s[6:7], v24, v14
	v_addc_co_u32_e64 v47, s[6:7], v26, v15, s[6:7]
	s_mov_b64 s[48:49], 0
	s_and_saveexec_b64 s[50:51], s[40:41]
	s_cbranch_execz .LBB16_42
; %bb.41:                               ;   in Loop: Header=BB16_40 Depth=3
	v_add_co_u32_e64 v11, s[6:7], v46, v19
	v_addc_co_u32_e64 v12, s[6:7], v47, v20, s[6:7]
	global_load_dword v48, v[11:12], off
	v_add_u32_e32 v11, v44, v25
	v_ashrrev_i32_e32 v12, 31, v11
	v_lshlrev_b64 v[11:12], 3, v[11:12]
	v_mov_b32_e32 v49, s61
	v_add_co_u32_e64 v11, s[6:7], s60, v11
	v_addc_co_u32_e64 v12, s[6:7], v49, v12, s[6:7]
	global_load_dwordx2 v[11:12], v[11:12], off
	s_waitcnt vmcnt(1)
	v_cmp_eq_u32_e64 s[6:7], v18, v48
	s_and_b64 s[48:49], s[6:7], exec
.LBB16_42:                              ;   in Loop: Header=BB16_40 Depth=3
	s_or_b64 exec, exec, s[50:51]
	s_mov_b64 s[50:51], 0
	s_mov_b64 s[52:53], 0
	s_and_saveexec_b64 s[54:55], s[42:43]
	s_cbranch_execz .LBB16_44
; %bb.43:                               ;   in Loop: Header=BB16_40 Depth=3
	v_add_co_u32_e64 v9, s[6:7], v46, v21
	v_addc_co_u32_e64 v10, s[6:7], v47, v22, s[6:7]
	global_load_dword v46, v[9:10], off
	v_add_u32_e32 v9, v43, v25
	v_ashrrev_i32_e32 v10, 31, v9
	v_lshlrev_b64 v[9:10], 3, v[9:10]
	v_mov_b32_e32 v47, s61
	v_add_co_u32_e64 v9, s[6:7], s60, v9
	v_addc_co_u32_e64 v10, s[6:7], v47, v10, s[6:7]
	global_load_dwordx2 v[9:10], v[9:10], off
	s_waitcnt vmcnt(1)
	v_cmp_eq_u32_e64 s[6:7], v18, v46
	s_and_b64 s[52:53], s[6:7], exec
.LBB16_44:                              ;   in Loop: Header=BB16_40 Depth=3
	s_or_b64 exec, exec, s[54:55]
	v_add_co_u32_e64 v24, s[6:7], v24, v16
	v_addc_co_u32_e64 v26, s[6:7], v26, v17, s[6:7]
	s_and_saveexec_b64 s[54:55], s[44:45]
	s_cbranch_execz .LBB16_46
; %bb.45:                               ;   in Loop: Header=BB16_40 Depth=3
	v_add_co_u32_e64 v7, s[6:7], v24, v19
	v_addc_co_u32_e64 v8, s[6:7], v26, v20, s[6:7]
	global_load_dword v46, v[7:8], off
	v_add_u32_e32 v7, v42, v25
	v_ashrrev_i32_e32 v8, 31, v7
	v_lshlrev_b64 v[7:8], 3, v[7:8]
	v_mov_b32_e32 v47, s61
	v_add_co_u32_e64 v7, s[6:7], s60, v7
	v_addc_co_u32_e64 v8, s[6:7], v47, v8, s[6:7]
	global_load_dwordx2 v[7:8], v[7:8], off
	s_waitcnt vmcnt(1)
	v_cmp_eq_u32_e64 s[6:7], v18, v46
	s_and_b64 s[50:51], s[6:7], exec
.LBB16_46:                              ;   in Loop: Header=BB16_40 Depth=3
	s_or_b64 exec, exec, s[54:55]
	s_mov_b64 s[6:7], 0
	s_and_saveexec_b64 s[54:55], s[8:9]
	s_cbranch_execz .LBB16_39
; %bb.47:                               ;   in Loop: Header=BB16_40 Depth=3
	v_add_co_u32_e64 v5, s[6:7], v24, v21
	v_addc_co_u32_e64 v6, s[6:7], v26, v22, s[6:7]
	global_load_dword v24, v[5:6], off
	v_add_u32_e32 v5, v4, v25
	v_ashrrev_i32_e32 v6, 31, v5
	v_lshlrev_b64 v[5:6], 3, v[5:6]
	v_mov_b32_e32 v26, s61
	v_add_co_u32_e64 v5, s[6:7], s60, v5
	v_addc_co_u32_e64 v6, s[6:7], v26, v6, s[6:7]
	global_load_dwordx2 v[5:6], v[5:6], off
	s_waitcnt vmcnt(1)
	v_cmp_eq_u32_e64 s[6:7], v18, v24
	s_and_b64 s[6:7], s[6:7], exec
	s_branch .LBB16_39
.LBB16_48:                              ;   in Loop: Header=BB16_19 Depth=2
	s_or_b64 exec, exec, s[46:47]
.LBB16_49:                              ;   in Loop: Header=BB16_19 Depth=2
	s_or_b64 exec, exec, s[38:39]
	s_or_b64 exec, exec, s[36:37]
	s_and_saveexec_b64 s[36:37], s[0:1]
	s_cbranch_execz .LBB16_52
.LBB16_50:                              ;   in Loop: Header=BB16_19 Depth=2
	v_ashrrev_i32_e32 v4, 31, v18
	v_mul_lo_u32 v20, s29, v18
	v_mad_u64_u32 v[18:19], s[6:7], s28, v18, 0
	v_mul_lo_u32 v4, s28, v4
	s_mov_b64 s[38:39], 0
	v_mov_b32_e32 v24, v0
	v_add3_u32 v19, v19, v4, v20
	v_lshlrev_b64 v[18:19], 3, v[18:19]
	v_mov_b32_e32 v4, s57
	v_add_co_u32_e64 v22, s[6:7], s11, v18
	v_mov_b32_e32 v21, v2
	v_addc_co_u32_e64 v23, s[6:7], v4, v19, s[6:7]
	v_mov_b32_e32 v18, v34
	v_mov_b32_e32 v20, v1
.LBB16_51:                              ;   Parent Loop BB16_13 Depth=1
                                        ;     Parent Loop BB16_19 Depth=2
                                        ; =>    This Inner Loop Header: Depth=3
	ds_read_b64 v[25:26], v24
	v_lshlrev_b64 v[42:43], 3, v[20:21]
	v_ashrrev_i32_e32 v19, 31, v18
	v_cmp_le_i64_e64 s[6:7], s[28:29], v[18:19]
	v_mov_b32_e32 v4, v3
	v_mov_b32_e32 v21, v19
	v_add_co_u32_e64 v42, s[8:9], v22, v42
	ds_write_b64 v24, v[3:4]
	v_mov_b32_e32 v20, v18
	v_add_u32_e32 v18, s68, v18
	v_add_u32_e32 v24, s25, v24
	v_addc_co_u32_e64 v43, s[8:9], v23, v43, s[8:9]
	s_or_b64 s[38:39], s[6:7], s[38:39]
	s_waitcnt lgkmcnt(1)
	global_store_dwordx2 v[42:43], v[25:26], off
	s_andn2_b64 exec, exec, s[38:39]
	s_cbranch_execnz .LBB16_51
.LBB16_52:                              ;   in Loop: Header=BB16_19 Depth=2
	s_or_b64 exec, exec, s[36:37]
                                        ; implicit-def: $vgpr4
                                        ; implicit-def: $vgpr18
.LBB16_53:                              ;   in Loop: Header=BB16_19 Depth=2
	s_andn2_saveexec_b64 s[8:9], s[34:35]
	s_cbranch_execz .LBB16_18
; %bb.54:                               ;   in Loop: Header=BB16_19 Depth=2
	s_and_saveexec_b64 s[34:35], s[0:1]
	s_cbranch_execz .LBB16_17
; %bb.55:                               ;   in Loop: Header=BB16_19 Depth=2
	v_mul_lo_u32 v20, v4, s24
	v_ashrrev_i32_e32 v19, 31, v18
	v_mul_lo_u32 v25, s29, v18
	v_mul_lo_u32 v42, s28, v19
	v_mad_u64_u32 v[23:24], s[6:7], s28, v18, 0
	v_ashrrev_i32_e32 v21, 31, v20
	v_lshlrev_b64 v[21:22], 3, v[20:21]
	v_add3_u32 v24, v24, v42, v25
	v_add_co_u32_e64 v4, s[6:7], v38, v21
	v_addc_co_u32_e64 v26, s[6:7], v39, v22, s[6:7]
	v_lshlrev_b64 v[21:22], 3, v[23:24]
	v_mov_b32_e32 v23, s57
	v_add_co_u32_e64 v42, s[6:7], s11, v21
	v_mov_b32_e32 v25, v2
	v_addc_co_u32_e64 v43, s[6:7], v23, v22, s[6:7]
	v_add_u32_e32 v44, v20, v13
	s_mov_b64 s[36:37], 0
	v_mov_b32_e32 v20, v34
	v_mov_b32_e32 v22, v33
	;; [unrolled: 1-line block ×3, first 2 shown]
	s_branch .LBB16_57
.LBB16_56:                              ;   in Loop: Header=BB16_57 Depth=3
	s_or_b64 exec, exec, s[38:39]
	v_ashrrev_i32_e32 v21, 31, v20
	v_cmp_le_i64_e64 s[6:7], s[28:29], v[20:21]
	v_mov_b32_e32 v25, v21
	v_mov_b32_e32 v24, v20
	v_add_u32_e32 v22, s22, v22
	s_or_b64 s[36:37], s[6:7], s[36:37]
	v_add_u32_e32 v20, s68, v20
	s_andn2_b64 exec, exec, s[36:37]
	s_cbranch_execz .LBB16_17
.LBB16_57:                              ;   Parent Loop BB16_13 Depth=1
                                        ;     Parent Loop BB16_19 Depth=2
                                        ; =>    This Inner Loop Header: Depth=3
	v_ashrrev_i32_e32 v23, 31, v22
	v_lshlrev_b64 v[45:46], 3, v[22:23]
	v_add_co_u32_e64 v45, s[6:7], v4, v45
	v_addc_co_u32_e64 v46, s[6:7], v26, v46, s[6:7]
	global_load_dwordx2 v[45:46], v[45:46], off
	s_waitcnt vmcnt(0)
	v_cmp_eq_u64_e64 s[6:7], v[45:46], v[18:19]
	s_and_saveexec_b64 s[38:39], s[6:7]
	s_cbranch_execz .LBB16_56
; %bb.58:                               ;   in Loop: Header=BB16_57 Depth=3
	v_add_u32_e32 v45, v44, v22
	v_ashrrev_i32_e32 v46, 31, v45
	v_lshlrev_b64 v[45:46], 3, v[45:46]
	v_mov_b32_e32 v21, s61
	v_add_co_u32_e64 v45, s[6:7], s60, v45
	v_addc_co_u32_e64 v46, s[6:7], v21, v46, s[6:7]
	global_load_dwordx2 v[45:46], v[45:46], off
	v_lshlrev_b64 v[23:24], 3, v[24:25]
	v_add_co_u32_e64 v23, s[6:7], v42, v23
	v_addc_co_u32_e64 v24, s[6:7], v43, v24, s[6:7]
	s_waitcnt vmcnt(0)
	global_store_dwordx2 v[23:24], v[45:46], off
	s_branch .LBB16_56
.LBB16_59:
	s_endpgm
.LBB16_60:
                                        ; implicit-def: $sgpr2_sgpr3
	s_andn2_b64 vcc, exec, s[34:35]
	s_cbranch_vccz .LBB16_5
	s_branch .LBB16_6
.LBB16_61:
                                        ; implicit-def: $sgpr36_sgpr37
	s_andn2_b64 vcc, exec, s[34:35]
	s_cbranch_vccz .LBB16_8
	s_branch .LBB16_9
	.section	.rodata,"a",@progbits
	.p2align	6, 0x0
	.amdhsa_kernel _ZN2at6native12_GLOBAL__N_122max_pool_backward_nhwcIddEEvPKT_PKlillliiiiiiiiiiiiiiiPS3_
		.amdhsa_group_segment_fixed_size 0
		.amdhsa_private_segment_fixed_size 0
		.amdhsa_kernarg_size 376
		.amdhsa_user_sgpr_count 6
		.amdhsa_user_sgpr_private_segment_buffer 1
		.amdhsa_user_sgpr_dispatch_ptr 0
		.amdhsa_user_sgpr_queue_ptr 0
		.amdhsa_user_sgpr_kernarg_segment_ptr 1
		.amdhsa_user_sgpr_dispatch_id 0
		.amdhsa_user_sgpr_flat_scratch_init 0
		.amdhsa_user_sgpr_private_segment_size 0
		.amdhsa_uses_dynamic_stack 0
		.amdhsa_system_sgpr_private_segment_wavefront_offset 0
		.amdhsa_system_sgpr_workgroup_id_x 1
		.amdhsa_system_sgpr_workgroup_id_y 1
		.amdhsa_system_sgpr_workgroup_id_z 1
		.amdhsa_system_sgpr_workgroup_info 0
		.amdhsa_system_vgpr_workitem_id 2
		.amdhsa_next_free_vgpr 53
		.amdhsa_next_free_sgpr 71
		.amdhsa_reserve_vcc 1
		.amdhsa_reserve_flat_scratch 0
		.amdhsa_float_round_mode_32 0
		.amdhsa_float_round_mode_16_64 0
		.amdhsa_float_denorm_mode_32 3
		.amdhsa_float_denorm_mode_16_64 3
		.amdhsa_dx10_clamp 1
		.amdhsa_ieee_mode 1
		.amdhsa_fp16_overflow 0
		.amdhsa_exception_fp_ieee_invalid_op 0
		.amdhsa_exception_fp_denorm_src 0
		.amdhsa_exception_fp_ieee_div_zero 0
		.amdhsa_exception_fp_ieee_overflow 0
		.amdhsa_exception_fp_ieee_underflow 0
		.amdhsa_exception_fp_ieee_inexact 0
		.amdhsa_exception_int_div_zero 0
	.end_amdhsa_kernel
	.section	.text._ZN2at6native12_GLOBAL__N_122max_pool_backward_nhwcIddEEvPKT_PKlillliiiiiiiiiiiiiiiPS3_,"axG",@progbits,_ZN2at6native12_GLOBAL__N_122max_pool_backward_nhwcIddEEvPKT_PKlillliiiiiiiiiiiiiiiPS3_,comdat
.Lfunc_end16:
	.size	_ZN2at6native12_GLOBAL__N_122max_pool_backward_nhwcIddEEvPKT_PKlillliiiiiiiiiiiiiiiPS3_, .Lfunc_end16-_ZN2at6native12_GLOBAL__N_122max_pool_backward_nhwcIddEEvPKT_PKlillliiiiiiiiiiiiiiiPS3_
                                        ; -- End function
	.set _ZN2at6native12_GLOBAL__N_122max_pool_backward_nhwcIddEEvPKT_PKlillliiiiiiiiiiiiiiiPS3_.num_vgpr, 53
	.set _ZN2at6native12_GLOBAL__N_122max_pool_backward_nhwcIddEEvPKT_PKlillliiiiiiiiiiiiiiiPS3_.num_agpr, 0
	.set _ZN2at6native12_GLOBAL__N_122max_pool_backward_nhwcIddEEvPKT_PKlillliiiiiiiiiiiiiiiPS3_.numbered_sgpr, 71
	.set _ZN2at6native12_GLOBAL__N_122max_pool_backward_nhwcIddEEvPKT_PKlillliiiiiiiiiiiiiiiPS3_.num_named_barrier, 0
	.set _ZN2at6native12_GLOBAL__N_122max_pool_backward_nhwcIddEEvPKT_PKlillliiiiiiiiiiiiiiiPS3_.private_seg_size, 0
	.set _ZN2at6native12_GLOBAL__N_122max_pool_backward_nhwcIddEEvPKT_PKlillliiiiiiiiiiiiiiiPS3_.uses_vcc, 1
	.set _ZN2at6native12_GLOBAL__N_122max_pool_backward_nhwcIddEEvPKT_PKlillliiiiiiiiiiiiiiiPS3_.uses_flat_scratch, 0
	.set _ZN2at6native12_GLOBAL__N_122max_pool_backward_nhwcIddEEvPKT_PKlillliiiiiiiiiiiiiiiPS3_.has_dyn_sized_stack, 0
	.set _ZN2at6native12_GLOBAL__N_122max_pool_backward_nhwcIddEEvPKT_PKlillliiiiiiiiiiiiiiiPS3_.has_recursion, 0
	.set _ZN2at6native12_GLOBAL__N_122max_pool_backward_nhwcIddEEvPKT_PKlillliiiiiiiiiiiiiiiPS3_.has_indirect_call, 0
	.section	.AMDGPU.csdata,"",@progbits
; Kernel info:
; codeLenInByte = 4568
; TotalNumSgprs: 75
; NumVgprs: 53
; ScratchSize: 0
; MemoryBound: 0
; FloatMode: 240
; IeeeMode: 1
; LDSByteSize: 0 bytes/workgroup (compile time only)
; SGPRBlocks: 9
; VGPRBlocks: 13
; NumSGPRsForWavesPerEU: 75
; NumVGPRsForWavesPerEU: 53
; Occupancy: 4
; WaveLimiterHint : 0
; COMPUTE_PGM_RSRC2:SCRATCH_EN: 0
; COMPUTE_PGM_RSRC2:USER_SGPR: 6
; COMPUTE_PGM_RSRC2:TRAP_HANDLER: 0
; COMPUTE_PGM_RSRC2:TGID_X_EN: 1
; COMPUTE_PGM_RSRC2:TGID_Y_EN: 1
; COMPUTE_PGM_RSRC2:TGID_Z_EN: 1
; COMPUTE_PGM_RSRC2:TIDIG_COMP_CNT: 2
	.section	.text._ZN2at6native12_GLOBAL__N_122max_pool_backward_nchwIddiEEvPKT_PKlT1_S8_S8_S8_S8_S8_iiiiiiiiPS3_,"axG",@progbits,_ZN2at6native12_GLOBAL__N_122max_pool_backward_nchwIddiEEvPKT_PKlT1_S8_S8_S8_S8_S8_iiiiiiiiPS3_,comdat
	.globl	_ZN2at6native12_GLOBAL__N_122max_pool_backward_nchwIddiEEvPKT_PKlT1_S8_S8_S8_S8_S8_iiiiiiiiPS3_ ; -- Begin function _ZN2at6native12_GLOBAL__N_122max_pool_backward_nchwIddiEEvPKT_PKlT1_S8_S8_S8_S8_S8_iiiiiiiiPS3_
	.p2align	8
	.type	_ZN2at6native12_GLOBAL__N_122max_pool_backward_nchwIddiEEvPKT_PKlT1_S8_S8_S8_S8_S8_iiiiiiiiPS3_,@function
_ZN2at6native12_GLOBAL__N_122max_pool_backward_nchwIddiEEvPKT_PKlT1_S8_S8_S8_S8_S8_iiiiiiiiPS3_: ; @_ZN2at6native12_GLOBAL__N_122max_pool_backward_nchwIddiEEvPKT_PKlT1_S8_S8_S8_S8_S8_iiiiiiiiPS3_
; %bb.0:
	s_load_dword s0, s[4:5], 0x5c
	s_load_dwordx8 s[12:19], s[4:5], 0x10
	s_add_u32 s10, s4, 0x50
	s_addc_u32 s11, s5, 0
	v_mov_b32_e32 v1, 0
	s_waitcnt lgkmcnt(0)
	s_and_b32 s0, s0, 0xffff
	v_mov_b32_e32 v2, s6
	v_mad_u64_u32 v[0:1], s[2:3], s0, v2, v[0:1]
	s_mul_i32 s28, s15, s14
	s_ashr_i32 s29, s28, 31
	v_cmp_gt_i64_e32 vcc, s[28:29], v[0:1]
	s_and_saveexec_b64 s[2:3], vcc
	s_cbranch_execz .LBB17_23
; %bb.1:
	s_load_dwordx8 s[20:27], s[4:5], 0x30
	s_add_i32 s1, s18, -1
	s_add_i32 s2, s19, -1
	s_mul_i32 s52, s17, s16
	s_mul_i32 s53, s52, s13
	s_waitcnt lgkmcnt(0)
	s_mul_i32 s6, s24, s1
	s_mul_i32 s9, s25, s2
	s_not_b32 s14, s6
	s_not_b32 s33, s9
	s_cmp_lt_i32 s7, s12
	s_cselect_b64 s[18:19], -1, 0
	s_cmp_lt_i32 s8, s13
	s_cselect_b64 s[30:31], -1, 0
	s_abs_i32 s44, s15
	v_cvt_f32_u32_e32 v2, s44
	s_abs_i32 s45, s20
	v_cvt_f32_u32_e32 v3, s45
	s_abs_i32 s46, s21
	v_rcp_iflag_f32_e32 v2, v2
	v_cvt_f32_u32_e32 v4, s46
	v_rcp_iflag_f32_e32 v3, v3
	s_load_dwordx2 s[34:35], s[4:5], 0x48
	s_load_dword s1, s[10:11], 0x0
	v_mul_f32_e32 v2, 0x4f7ffffe, v2
	v_rcp_iflag_f32_e32 v4, v4
	v_cvt_u32_f32_e32 v2, v2
	v_mul_f32_e32 v3, 0x4f7ffffe, v3
	s_sub_i32 s2, 0, s44
	v_cvt_u32_f32_e32 v3, v3
	v_mul_f32_e32 v4, 0x4f7ffffe, v4
	v_mul_lo_u32 v5, s2, v2
	v_cvt_u32_f32_e32 v4, v4
	s_waitcnt lgkmcnt(0)
	s_mul_i32 s47, s1, s0
	s_sub_i32 s0, 0, s45
	v_mul_lo_u32 v6, s0, v3
	s_sub_i32 s0, 0, s46
	v_mul_hi_u32 v5, v2, v5
	v_mul_lo_u32 v7, s0, v4
	s_load_dwordx4 s[24:27], s[4:5], 0x0
	v_mul_hi_u32 v6, v3, v6
	v_add_u32_e32 v9, v2, v5
	v_mul_hi_u32 v2, v4, v7
	s_mul_i32 s0, s7, s13
	s_add_i32 s0, s8, s0
	s_ashr_i32 s48, s15, 31
	s_ashr_i32 s49, s20, 31
	v_add_u32_e32 v10, v3, v6
	s_ashr_i32 s50, s21, 31
	v_add_u32_e32 v11, v4, v2
	s_mul_i32 s51, s16, s0
	s_mov_b64 s[4:5], 0
	s_branch .LBB17_3
.LBB17_2:                               ;   in Loop: Header=BB17_3 Depth=1
	v_add_co_u32_e32 v0, vcc, s47, v0
	v_addc_co_u32_e32 v1, vcc, 0, v1, vcc
	v_cmp_le_i64_e32 vcc, s[28:29], v[0:1]
	s_or_b64 s[4:5], vcc, s[4:5]
	s_andn2_b64 exec, exec, s[4:5]
	s_cbranch_execz .LBB17_23
.LBB17_3:                               ; =>This Loop Header: Depth=1
                                        ;     Child Loop BB17_10 Depth 2
                                        ;       Child Loop BB17_14 Depth 3
                                        ;         Child Loop BB17_18 Depth 4
                                        ;           Child Loop BB17_21 Depth 5
	v_sub_u32_e32 v2, 0, v0
	v_max_i32_e32 v3, v0, v2
	v_mul_hi_u32 v4, v3, v9
	v_ashrrev_i32_e32 v5, 31, v0
	v_xor_b32_e32 v5, s48, v5
	v_mov_b32_e32 v2, 0
	v_mul_lo_u32 v6, v4, s44
	v_add_u32_e32 v7, 1, v4
	v_mov_b32_e32 v12, 0
	v_sub_u32_e32 v3, v3, v6
	v_cmp_le_u32_e32 vcc, s44, v3
	v_subrev_u32_e32 v6, s44, v3
	v_cndmask_b32_e32 v4, v4, v7, vcc
	v_cndmask_b32_e32 v3, v3, v6, vcc
	v_add_u32_e32 v6, 1, v4
	v_cmp_le_u32_e32 vcc, s44, v3
	v_cndmask_b32_e32 v3, v4, v6, vcc
	v_xor_b32_e32 v3, v3, v5
	v_sub_u32_e32 v4, v3, v5
	v_add_u32_e32 v3, s22, v4
	v_cmp_lt_i32_e32 vcc, s6, v3
	s_and_saveexec_b64 s[0:1], vcc
	s_cbranch_execz .LBB17_5
; %bb.4:                                ;   in Loop: Header=BB17_3 Depth=1
	v_add_u32_e32 v5, s14, v3
	v_sub_u32_e32 v6, 0, v5
	v_max_i32_e32 v6, v5, v6
	v_mul_hi_u32 v7, v6, v10
	v_ashrrev_i32_e32 v5, 31, v5
	v_xor_b32_e32 v5, s49, v5
	v_mul_lo_u32 v8, v7, s45
	v_add_u32_e32 v12, 1, v7
	v_sub_u32_e32 v6, v6, v8
	v_cmp_le_u32_e32 vcc, s45, v6
	v_subrev_u32_e32 v8, s45, v6
	v_cndmask_b32_e32 v7, v7, v12, vcc
	v_cndmask_b32_e32 v6, v6, v8, vcc
	v_add_u32_e32 v8, 1, v7
	v_cmp_le_u32_e32 vcc, s45, v6
	v_cndmask_b32_e32 v6, v7, v8, vcc
	v_xor_b32_e32 v6, v6, v5
	v_sub_u32_e32 v5, v6, v5
	v_add_u32_e32 v12, 1, v5
.LBB17_5:                               ;   in Loop: Header=BB17_3 Depth=1
	s_or_b64 exec, exec, s[0:1]
	v_mul_lo_u32 v4, v4, s15
	v_sub_u32_e32 v4, v0, v4
	v_add_u32_e32 v4, s23, v4
	v_cmp_lt_i32_e32 vcc, s9, v4
	s_and_saveexec_b64 s[0:1], vcc
	s_cbranch_execz .LBB17_7
; %bb.6:                                ;   in Loop: Header=BB17_3 Depth=1
	v_add_u32_e32 v2, s33, v4
	v_sub_u32_e32 v5, 0, v2
	v_max_i32_e32 v5, v2, v5
	v_mul_hi_u32 v6, v5, v11
	v_ashrrev_i32_e32 v2, 31, v2
	v_xor_b32_e32 v2, s50, v2
	v_mul_lo_u32 v7, v6, s46
	v_add_u32_e32 v8, 1, v6
	v_sub_u32_e32 v5, v5, v7
	v_cmp_le_u32_e32 vcc, s46, v5
	v_subrev_u32_e32 v7, s46, v5
	v_cndmask_b32_e32 v6, v6, v8, vcc
	v_cndmask_b32_e32 v5, v5, v7, vcc
	v_add_u32_e32 v7, 1, v6
	v_cmp_le_u32_e32 vcc, s46, v5
	v_cndmask_b32_e32 v5, v6, v7, vcc
	v_xor_b32_e32 v5, v5, v2
	v_sub_u32_e32 v2, v5, v2
	v_add_u32_e32 v2, 1, v2
.LBB17_7:                               ;   in Loop: Header=BB17_3 Depth=1
	s_or_b64 exec, exec, s[0:1]
	s_andn2_b64 vcc, exec, s[18:19]
	s_cbranch_vccnz .LBB17_2
; %bb.8:                                ;   in Loop: Header=BB17_3 Depth=1
	v_sub_u32_e32 v5, 0, v4
	v_max_i32_e32 v5, v4, v5
	v_mul_hi_u32 v6, v5, v11
	v_ashrrev_i32_e32 v4, 31, v4
	v_xor_b32_e32 v4, s50, v4
	s_load_dword s54, s[10:11], 0x4
	v_mul_lo_u32 v7, v6, s46
	v_add_u32_e32 v8, 1, v6
	s_mov_b32 s56, s7
	s_waitcnt lgkmcnt(0)
	s_mul_i32 s55, s53, s54
	v_sub_u32_e32 v5, v5, v7
	v_cmp_le_u32_e32 vcc, s46, v5
	v_subrev_u32_e32 v7, s46, v5
	v_cndmask_b32_e32 v6, v6, v8, vcc
	v_cndmask_b32_e32 v5, v5, v7, vcc
	v_add_u32_e32 v7, 1, v6
	v_cmp_le_u32_e32 vcc, s46, v5
	v_cndmask_b32_e32 v5, v6, v7, vcc
	v_sub_u32_e32 v6, 0, v3
	v_max_i32_e32 v6, v3, v6
	v_mul_hi_u32 v7, v6, v10
	v_xor_b32_e32 v5, v5, v4
	v_sub_u32_e32 v4, v5, v4
	v_add_u32_e32 v4, 1, v4
	v_mul_lo_u32 v5, v7, s45
	v_min_i32_e32 v13, s17, v4
	v_ashrrev_i32_e32 v3, 31, v3
	v_xor_b32_e32 v3, s49, v3
	v_sub_u32_e32 v4, v6, v5
	v_add_u32_e32 v5, 1, v7
	v_cmp_le_u32_e32 vcc, s45, v4
	v_subrev_u32_e32 v6, s45, v4
	v_cndmask_b32_e32 v5, v7, v5, vcc
	v_cndmask_b32_e32 v4, v4, v6, vcc
	v_add_u32_e32 v6, 1, v5
	v_cmp_le_u32_e32 vcc, s45, v4
	v_cndmask_b32_e32 v4, v5, v6, vcc
	v_xor_b32_e32 v4, v4, v3
	v_sub_u32_e32 v3, v4, v3
	v_add_u32_e32 v3, 1, v3
	v_min_i32_e32 v14, s16, v3
	v_add_u32_e32 v3, s51, v12
	v_mad_u64_u32 v[3:4], s[2:3], s17, v3, v[2:3]
	v_cmp_lt_i32_e64 s[0:1], v12, v14
	v_cmp_lt_i32_e64 s[2:3], v2, v13
	s_branch .LBB17_10
.LBB17_9:                               ;   in Loop: Header=BB17_10 Depth=2
	s_add_i32 s56, s54, s56
	s_cmp_ge_i32 s56, s12
	v_add_u32_e32 v3, s55, v3
	s_cbranch_scc1 .LBB17_2
.LBB17_10:                              ;   Parent Loop BB17_3 Depth=1
                                        ; =>  This Loop Header: Depth=2
                                        ;       Child Loop BB17_14 Depth 3
                                        ;         Child Loop BB17_18 Depth 4
                                        ;           Child Loop BB17_21 Depth 5
	s_andn2_b64 vcc, exec, s[30:31]
	s_cbranch_vccnz .LBB17_9
; %bb.11:                               ;   in Loop: Header=BB17_10 Depth=2
	s_load_dword s57, s[10:11], 0x8
	s_mul_i32 s58, s56, s13
	v_mov_b32_e32 v15, v3
	s_mov_b32 s60, s8
	s_waitcnt lgkmcnt(0)
	s_mul_i32 s59, s52, s57
	s_branch .LBB17_14
.LBB17_12:                              ;   in Loop: Header=BB17_14 Depth=3
	s_or_b64 exec, exec, s[36:37]
.LBB17_13:                              ;   in Loop: Header=BB17_14 Depth=3
	s_or_b64 exec, exec, s[20:21]
	s_add_i32 s20, s60, s58
	s_mul_i32 s20, s28, s20
	v_add_u32_e32 v6, s20, v0
	v_ashrrev_i32_e32 v7, 31, v6
	v_lshlrev_b64 v[6:7], 3, v[6:7]
	v_mov_b32_e32 v8, s35
	v_add_co_u32_e32 v6, vcc, s34, v6
	s_add_i32 s60, s57, s60
	v_addc_co_u32_e32 v7, vcc, v8, v7, vcc
	s_cmp_ge_i32 s60, s13
	v_add_u32_e32 v15, s59, v15
	global_store_dwordx2 v[6:7], v[4:5], off
	s_cbranch_scc1 .LBB17_9
.LBB17_14:                              ;   Parent Loop BB17_3 Depth=1
                                        ;     Parent Loop BB17_10 Depth=2
                                        ; =>    This Loop Header: Depth=3
                                        ;         Child Loop BB17_18 Depth 4
                                        ;           Child Loop BB17_21 Depth 5
	v_mov_b32_e32 v4, 0
	v_mov_b32_e32 v5, 0
	s_and_saveexec_b64 s[20:21], s[0:1]
	s_cbranch_execz .LBB17_13
; %bb.15:                               ;   in Loop: Header=BB17_14 Depth=3
	v_mov_b32_e32 v4, 0
	v_mov_b32_e32 v5, 0
	s_mov_b64 s[36:37], 0
	v_mov_b32_e32 v16, v15
	v_mov_b32_e32 v17, v12
	s_branch .LBB17_18
.LBB17_16:                              ;   in Loop: Header=BB17_18 Depth=4
	s_or_b64 exec, exec, s[40:41]
.LBB17_17:                              ;   in Loop: Header=BB17_18 Depth=4
	s_or_b64 exec, exec, s[38:39]
	v_add_u32_e32 v17, 1, v17
	v_cmp_ge_i32_e32 vcc, v17, v14
	s_or_b64 s[36:37], vcc, s[36:37]
	v_add_u32_e32 v16, s17, v16
	s_andn2_b64 exec, exec, s[36:37]
	s_cbranch_execz .LBB17_12
.LBB17_18:                              ;   Parent Loop BB17_3 Depth=1
                                        ;     Parent Loop BB17_10 Depth=2
                                        ;       Parent Loop BB17_14 Depth=3
                                        ; =>      This Loop Header: Depth=4
                                        ;           Child Loop BB17_21 Depth 5
	s_and_saveexec_b64 s[38:39], s[2:3]
	s_cbranch_execz .LBB17_17
; %bb.19:                               ;   in Loop: Header=BB17_18 Depth=4
	s_mov_b64 s[40:41], 0
	v_mov_b32_e32 v6, v16
	v_mov_b32_e32 v18, v2
	s_branch .LBB17_21
.LBB17_20:                              ;   in Loop: Header=BB17_21 Depth=5
	s_or_b64 exec, exec, s[42:43]
	v_add_u32_e32 v18, 1, v18
	v_cmp_ge_i32_e32 vcc, v18, v13
	s_or_b64 s[40:41], vcc, s[40:41]
	v_add_u32_e32 v6, 1, v6
	s_andn2_b64 exec, exec, s[40:41]
	s_cbranch_execz .LBB17_16
.LBB17_21:                              ;   Parent Loop BB17_3 Depth=1
                                        ;     Parent Loop BB17_10 Depth=2
                                        ;       Parent Loop BB17_14 Depth=3
                                        ;         Parent Loop BB17_18 Depth=4
                                        ; =>        This Inner Loop Header: Depth=5
	v_ashrrev_i32_e32 v7, 31, v6
	v_lshlrev_b64 v[7:8], 3, v[6:7]
	v_mov_b32_e32 v20, s27
	v_add_co_u32_e32 v19, vcc, s26, v7
	v_addc_co_u32_e32 v20, vcc, v20, v8, vcc
	global_load_dwordx2 v[19:20], v[19:20], off
	s_waitcnt vmcnt(0)
	v_cmp_eq_u64_e32 vcc, v[19:20], v[0:1]
	s_and_saveexec_b64 s[42:43], vcc
	s_cbranch_execz .LBB17_20
; %bb.22:                               ;   in Loop: Header=BB17_21 Depth=5
	v_mov_b32_e32 v19, s25
	v_add_co_u32_e32 v7, vcc, s24, v7
	v_addc_co_u32_e32 v8, vcc, v19, v8, vcc
	global_load_dwordx2 v[7:8], v[7:8], off
	s_waitcnt vmcnt(0)
	v_add_f64 v[4:5], v[4:5], v[7:8]
	s_branch .LBB17_20
.LBB17_23:
	s_endpgm
	.section	.rodata,"a",@progbits
	.p2align	6, 0x0
	.amdhsa_kernel _ZN2at6native12_GLOBAL__N_122max_pool_backward_nchwIddiEEvPKT_PKlT1_S8_S8_S8_S8_S8_iiiiiiiiPS3_
		.amdhsa_group_segment_fixed_size 0
		.amdhsa_private_segment_fixed_size 0
		.amdhsa_kernarg_size 336
		.amdhsa_user_sgpr_count 6
		.amdhsa_user_sgpr_private_segment_buffer 1
		.amdhsa_user_sgpr_dispatch_ptr 0
		.amdhsa_user_sgpr_queue_ptr 0
		.amdhsa_user_sgpr_kernarg_segment_ptr 1
		.amdhsa_user_sgpr_dispatch_id 0
		.amdhsa_user_sgpr_flat_scratch_init 0
		.amdhsa_user_sgpr_private_segment_size 0
		.amdhsa_uses_dynamic_stack 0
		.amdhsa_system_sgpr_private_segment_wavefront_offset 0
		.amdhsa_system_sgpr_workgroup_id_x 1
		.amdhsa_system_sgpr_workgroup_id_y 1
		.amdhsa_system_sgpr_workgroup_id_z 1
		.amdhsa_system_sgpr_workgroup_info 0
		.amdhsa_system_vgpr_workitem_id 0
		.amdhsa_next_free_vgpr 21
		.amdhsa_next_free_sgpr 61
		.amdhsa_reserve_vcc 1
		.amdhsa_reserve_flat_scratch 0
		.amdhsa_float_round_mode_32 0
		.amdhsa_float_round_mode_16_64 0
		.amdhsa_float_denorm_mode_32 3
		.amdhsa_float_denorm_mode_16_64 3
		.amdhsa_dx10_clamp 1
		.amdhsa_ieee_mode 1
		.amdhsa_fp16_overflow 0
		.amdhsa_exception_fp_ieee_invalid_op 0
		.amdhsa_exception_fp_denorm_src 0
		.amdhsa_exception_fp_ieee_div_zero 0
		.amdhsa_exception_fp_ieee_overflow 0
		.amdhsa_exception_fp_ieee_underflow 0
		.amdhsa_exception_fp_ieee_inexact 0
		.amdhsa_exception_int_div_zero 0
	.end_amdhsa_kernel
	.section	.text._ZN2at6native12_GLOBAL__N_122max_pool_backward_nchwIddiEEvPKT_PKlT1_S8_S8_S8_S8_S8_iiiiiiiiPS3_,"axG",@progbits,_ZN2at6native12_GLOBAL__N_122max_pool_backward_nchwIddiEEvPKT_PKlT1_S8_S8_S8_S8_S8_iiiiiiiiPS3_,comdat
.Lfunc_end17:
	.size	_ZN2at6native12_GLOBAL__N_122max_pool_backward_nchwIddiEEvPKT_PKlT1_S8_S8_S8_S8_S8_iiiiiiiiPS3_, .Lfunc_end17-_ZN2at6native12_GLOBAL__N_122max_pool_backward_nchwIddiEEvPKT_PKlT1_S8_S8_S8_S8_S8_iiiiiiiiPS3_
                                        ; -- End function
	.set _ZN2at6native12_GLOBAL__N_122max_pool_backward_nchwIddiEEvPKT_PKlT1_S8_S8_S8_S8_S8_iiiiiiiiPS3_.num_vgpr, 21
	.set _ZN2at6native12_GLOBAL__N_122max_pool_backward_nchwIddiEEvPKT_PKlT1_S8_S8_S8_S8_S8_iiiiiiiiPS3_.num_agpr, 0
	.set _ZN2at6native12_GLOBAL__N_122max_pool_backward_nchwIddiEEvPKT_PKlT1_S8_S8_S8_S8_S8_iiiiiiiiPS3_.numbered_sgpr, 61
	.set _ZN2at6native12_GLOBAL__N_122max_pool_backward_nchwIddiEEvPKT_PKlT1_S8_S8_S8_S8_S8_iiiiiiiiPS3_.num_named_barrier, 0
	.set _ZN2at6native12_GLOBAL__N_122max_pool_backward_nchwIddiEEvPKT_PKlT1_S8_S8_S8_S8_S8_iiiiiiiiPS3_.private_seg_size, 0
	.set _ZN2at6native12_GLOBAL__N_122max_pool_backward_nchwIddiEEvPKT_PKlT1_S8_S8_S8_S8_S8_iiiiiiiiPS3_.uses_vcc, 1
	.set _ZN2at6native12_GLOBAL__N_122max_pool_backward_nchwIddiEEvPKT_PKlT1_S8_S8_S8_S8_S8_iiiiiiiiPS3_.uses_flat_scratch, 0
	.set _ZN2at6native12_GLOBAL__N_122max_pool_backward_nchwIddiEEvPKT_PKlT1_S8_S8_S8_S8_S8_iiiiiiiiPS3_.has_dyn_sized_stack, 0
	.set _ZN2at6native12_GLOBAL__N_122max_pool_backward_nchwIddiEEvPKT_PKlT1_S8_S8_S8_S8_S8_iiiiiiiiPS3_.has_recursion, 0
	.set _ZN2at6native12_GLOBAL__N_122max_pool_backward_nchwIddiEEvPKT_PKlT1_S8_S8_S8_S8_S8_iiiiiiiiPS3_.has_indirect_call, 0
	.section	.AMDGPU.csdata,"",@progbits
; Kernel info:
; codeLenInByte = 1236
; TotalNumSgprs: 65
; NumVgprs: 21
; ScratchSize: 0
; MemoryBound: 0
; FloatMode: 240
; IeeeMode: 1
; LDSByteSize: 0 bytes/workgroup (compile time only)
; SGPRBlocks: 8
; VGPRBlocks: 5
; NumSGPRsForWavesPerEU: 65
; NumVGPRsForWavesPerEU: 21
; Occupancy: 10
; WaveLimiterHint : 0
; COMPUTE_PGM_RSRC2:SCRATCH_EN: 0
; COMPUTE_PGM_RSRC2:USER_SGPR: 6
; COMPUTE_PGM_RSRC2:TRAP_HANDLER: 0
; COMPUTE_PGM_RSRC2:TGID_X_EN: 1
; COMPUTE_PGM_RSRC2:TGID_Y_EN: 1
; COMPUTE_PGM_RSRC2:TGID_Z_EN: 1
; COMPUTE_PGM_RSRC2:TIDIG_COMP_CNT: 0
	.section	.text._ZN2at6native12_GLOBAL__N_122max_pool_backward_nchwIddlEEvPKT_PKlT1_S8_S8_S8_S8_S8_iiiiiiiiPS3_,"axG",@progbits,_ZN2at6native12_GLOBAL__N_122max_pool_backward_nchwIddlEEvPKT_PKlT1_S8_S8_S8_S8_S8_iiiiiiiiPS3_,comdat
	.globl	_ZN2at6native12_GLOBAL__N_122max_pool_backward_nchwIddlEEvPKT_PKlT1_S8_S8_S8_S8_S8_iiiiiiiiPS3_ ; -- Begin function _ZN2at6native12_GLOBAL__N_122max_pool_backward_nchwIddlEEvPKT_PKlT1_S8_S8_S8_S8_S8_iiiiiiiiPS3_
	.p2align	8
	.type	_ZN2at6native12_GLOBAL__N_122max_pool_backward_nchwIddlEEvPKT_PKlT1_S8_S8_S8_S8_S8_iiiiiiiiPS3_,@function
_ZN2at6native12_GLOBAL__N_122max_pool_backward_nchwIddlEEvPKT_PKlT1_S8_S8_S8_S8_S8_iiiiiiiiPS3_: ; @_ZN2at6native12_GLOBAL__N_122max_pool_backward_nchwIddlEEvPKT_PKlT1_S8_S8_S8_S8_S8_iiiiiiiiPS3_
; %bb.0:
	s_load_dword s0, s[4:5], 0x74
	s_load_dwordx16 s[12:27], s[4:5], 0x0
	s_add_u32 s30, s4, 0x68
	v_mov_b32_e32 v2, 0
	s_mov_b32 s28, s7
	s_addc_u32 s31, s5, 0
	s_waitcnt lgkmcnt(0)
	s_and_b32 s7, s0, 0xffff
	v_mov_b32_e32 v1, v2
	v_mov_b32_e32 v3, s6
	v_mad_u64_u32 v[0:1], s[0:1], s7, v3, v[0:1]
	s_mul_i32 s0, s22, s21
	s_mul_hi_u32 s1, s22, s20
	s_add_i32 s0, s1, s0
	s_mul_i32 s1, s23, s20
	s_add_i32 s21, s0, s1
	s_mul_i32 s20, s22, s20
	v_cmp_gt_i64_e32 vcc, s[20:21], v[0:1]
	s_and_saveexec_b64 s[0:1], vcc
	s_cbranch_execz .LBB18_43
; %bb.1:
	s_load_dwordx8 s[40:47], s[4:5], 0x40
	s_load_dwordx2 s[34:35], s[4:5], 0x60
	s_load_dword s6, s[30:31], 0x0
	s_mul_i32 s4, s19, s28
	s_mul_hi_u32 s5, s18, s28
	s_waitcnt lgkmcnt(0)
	s_add_i32 s0, s40, -1
	s_mul_i32 s0, s46, s0
	s_add_i32 s36, s0, 1
	s_add_i32 s0, s41, -1
	s_mul_i32 s0, s47, s0
	s_add_i32 s38, s0, 1
	s_ashr_i32 s33, s44, 31
	s_ashr_i32 s37, s36, 31
	;; [unrolled: 1-line block ×6, first 2 shown]
	s_add_i32 s5, s5, s4
	s_mul_i32 s4, s18, s28
	s_add_u32 s4, s4, s8
	s_addc_u32 s5, s5, 0
	s_mul_i32 s67, s6, s7
	s_mul_i32 s5, s24, s5
	s_mul_hi_u32 s6, s24, s4
	s_add_i32 s5, s6, s5
	s_mul_i32 s6, s25, s4
	s_add_i32 s68, s5, s6
	s_mul_i32 s69, s24, s4
	s_mul_i32 s4, s26, s25
	s_mul_hi_u32 s5, s26, s24
	s_mov_b32 s29, 0
	v_mov_b32_e32 v3, s28
	s_add_i32 s4, s5, s4
	s_mul_i32 s5, s27, s24
	v_mov_b32_e32 v4, s29
	s_add_i32 s5, s4, s5
	s_mul_i32 s4, s26, s24
	v_cmp_gt_i64_e64 s[0:1], s[16:17], v[3:4]
	s_mov_b32 s9, s29
	v_mov_b32_e32 v3, s8
	s_mul_i32 s6, s4, s19
	s_mul_hi_u32 s7, s4, s18
	v_mov_b32_e32 v4, s9
	s_add_i32 s6, s7, s6
	s_mul_i32 s7, s5, s18
	v_cmp_gt_i64_e64 s[2:3], s[18:19], v[3:4]
	s_add_i32 s7, s6, s7
	s_mul_i32 s6, s4, s18
	s_mov_b32 s60, s44
	s_mov_b32 s62, s42
	s_mov_b32 s64, s45
	s_mov_b32 s66, s43
	s_lshl_b64 s[40:41], s[6:7], 3
	s_lshl_b64 s[42:43], s[4:5], 3
	;; [unrolled: 1-line block ×3, first 2 shown]
	s_mov_b64 s[46:47], 0
	s_branch .LBB18_3
.LBB18_2:                               ;   in Loop: Header=BB18_3 Depth=1
	v_add_co_u32_e32 v0, vcc, s67, v0
	v_addc_co_u32_e32 v1, vcc, 0, v1, vcc
	v_cmp_le_i64_e32 vcc, s[20:21], v[0:1]
	s_or_b64 s[46:47], vcc, s[46:47]
	s_andn2_b64 exec, exec, s[46:47]
	s_cbranch_execz .LBB18_43
.LBB18_3:                               ; =>This Loop Header: Depth=1
                                        ;     Child Loop BB18_30 Depth 2
                                        ;       Child Loop BB18_34 Depth 3
                                        ;         Child Loop BB18_38 Depth 4
                                        ;           Child Loop BB18_41 Depth 5
	v_or_b32_e32 v3, s23, v1
	v_cmp_ne_u64_e32 vcc, 0, v[2:3]
                                        ; implicit-def: $vgpr6_vgpr7
	s_and_saveexec_b64 s[4:5], vcc
	s_xor_b64 s[6:7], exec, s[4:5]
	s_cbranch_execz .LBB18_5
; %bb.4:                                ;   in Loop: Header=BB18_3 Depth=1
	s_ashr_i32 s10, s23, 31
	s_add_u32 s4, s22, s10
	s_mov_b32 s11, s10
	s_addc_u32 s5, s23, s10
	s_xor_b64 s[48:49], s[4:5], s[10:11]
	v_cvt_f32_u32_e32 v3, s48
	v_cvt_f32_u32_e32 v4, s49
	s_sub_u32 s11, 0, s48
	s_subb_u32 s50, 0, s49
	v_ashrrev_i32_e32 v7, 31, v1
	v_mac_f32_e32 v3, 0x4f800000, v4
	v_rcp_f32_e32 v3, v3
	v_mul_f32_e32 v3, 0x5f7ffffc, v3
	v_mul_f32_e32 v4, 0x2f800000, v3
	v_trunc_f32_e32 v4, v4
	v_mac_f32_e32 v3, 0xcf800000, v4
	v_cvt_u32_f32_e32 v4, v4
	v_cvt_u32_f32_e32 v3, v3
	v_readfirstlane_b32 s51, v4
	v_readfirstlane_b32 s4, v3
	s_mul_i32 s5, s11, s51
	s_mul_hi_u32 s53, s11, s4
	s_mul_i32 s52, s50, s4
	s_add_i32 s5, s53, s5
	s_add_i32 s5, s5, s52
	s_mul_i32 s54, s11, s4
	s_mul_i32 s53, s4, s5
	s_mul_hi_u32 s55, s4, s54
	s_mul_hi_u32 s52, s4, s5
	s_add_u32 s53, s55, s53
	s_addc_u32 s52, 0, s52
	s_mul_hi_u32 s56, s51, s54
	s_mul_i32 s54, s51, s54
	s_add_u32 s53, s53, s54
	s_mul_hi_u32 s55, s51, s5
	s_addc_u32 s52, s52, s56
	s_addc_u32 s53, s55, 0
	s_mul_i32 s5, s51, s5
	s_add_u32 s5, s52, s5
	s_addc_u32 s52, 0, s53
	s_add_u32 s53, s4, s5
	s_cselect_b64 s[4:5], -1, 0
	s_cmp_lg_u64 s[4:5], 0
	s_addc_u32 s51, s51, s52
	s_mul_i32 s4, s11, s51
	s_mul_hi_u32 s5, s11, s53
	s_add_i32 s4, s5, s4
	s_mul_i32 s50, s50, s53
	s_add_i32 s4, s4, s50
	s_mul_i32 s11, s11, s53
	s_mul_hi_u32 s50, s51, s11
	s_mul_i32 s52, s51, s11
	s_mul_i32 s55, s53, s4
	s_mul_hi_u32 s11, s53, s11
	s_mul_hi_u32 s54, s53, s4
	s_add_u32 s11, s11, s55
	s_addc_u32 s54, 0, s54
	s_add_u32 s11, s11, s52
	s_mul_hi_u32 s5, s51, s4
	s_addc_u32 s11, s54, s50
	s_addc_u32 s5, s5, 0
	s_mul_i32 s4, s51, s4
	s_add_u32 s4, s11, s4
	s_addc_u32 s11, 0, s5
	s_add_u32 s50, s53, s4
	s_cselect_b64 s[4:5], -1, 0
	s_cmp_lg_u64 s[4:5], 0
	v_add_co_u32_e32 v3, vcc, v0, v7
	s_addc_u32 s11, s51, s11
	v_xor_b32_e32 v8, v3, v7
	v_mad_u64_u32 v[3:4], s[4:5], v8, s11, 0
	v_mul_hi_u32 v6, v8, s50
	v_addc_co_u32_e32 v5, vcc, v1, v7, vcc
	v_xor_b32_e32 v9, v5, v7
	v_add_co_u32_e32 v10, vcc, v6, v3
	v_addc_co_u32_e32 v11, vcc, 0, v4, vcc
	v_mad_u64_u32 v[3:4], s[4:5], v9, s50, 0
	v_mad_u64_u32 v[5:6], s[4:5], v9, s11, 0
	v_add_co_u32_e32 v3, vcc, v10, v3
	v_addc_co_u32_e32 v3, vcc, v11, v4, vcc
	v_addc_co_u32_e32 v4, vcc, 0, v6, vcc
	v_add_co_u32_e32 v5, vcc, v3, v5
	v_addc_co_u32_e32 v6, vcc, 0, v4, vcc
	v_mul_lo_u32 v10, s49, v5
	v_mul_lo_u32 v11, s48, v6
	v_mad_u64_u32 v[3:4], s[4:5], s48, v5, 0
	v_add3_u32 v4, v4, v11, v10
	v_sub_u32_e32 v10, v9, v4
	v_mov_b32_e32 v11, s49
	v_sub_co_u32_e32 v3, vcc, v8, v3
	v_subb_co_u32_e64 v8, s[4:5], v10, v11, vcc
	v_subrev_co_u32_e64 v10, s[4:5], s48, v3
	v_subbrev_co_u32_e64 v8, s[4:5], 0, v8, s[4:5]
	v_cmp_le_u32_e64 s[4:5], s49, v8
	v_cndmask_b32_e64 v11, 0, -1, s[4:5]
	v_cmp_le_u32_e64 s[4:5], s48, v10
	v_cndmask_b32_e64 v10, 0, -1, s[4:5]
	v_cmp_eq_u32_e64 s[4:5], s49, v8
	v_cndmask_b32_e64 v8, v11, v10, s[4:5]
	v_add_co_u32_e64 v10, s[4:5], 2, v5
	v_subb_co_u32_e32 v4, vcc, v9, v4, vcc
	v_addc_co_u32_e64 v11, s[4:5], 0, v6, s[4:5]
	v_cmp_le_u32_e32 vcc, s49, v4
	v_add_co_u32_e64 v12, s[4:5], 1, v5
	v_cndmask_b32_e64 v9, 0, -1, vcc
	v_cmp_le_u32_e32 vcc, s48, v3
	v_addc_co_u32_e64 v13, s[4:5], 0, v6, s[4:5]
	v_cndmask_b32_e64 v3, 0, -1, vcc
	v_cmp_eq_u32_e32 vcc, s49, v4
	v_cmp_ne_u32_e64 s[4:5], 0, v8
	v_cndmask_b32_e32 v3, v9, v3, vcc
	v_cmp_ne_u32_e32 vcc, 0, v3
	v_cndmask_b32_e64 v4, v12, v10, s[4:5]
	v_cndmask_b32_e64 v8, v13, v11, s[4:5]
	v_cndmask_b32_e32 v4, v5, v4, vcc
	v_xor_b32_e32 v5, s10, v7
	v_cndmask_b32_e32 v3, v6, v8, vcc
	v_xor_b32_e32 v4, v4, v5
	v_xor_b32_e32 v3, v3, v5
	v_sub_co_u32_e32 v6, vcc, v4, v5
	v_subb_co_u32_e32 v7, vcc, v3, v5, vcc
.LBB18_5:                               ;   in Loop: Header=BB18_3 Depth=1
	s_andn2_saveexec_b64 s[4:5], s[6:7]
	s_cbranch_execz .LBB18_7
; %bb.6:                                ;   in Loop: Header=BB18_3 Depth=1
	v_cvt_f32_u32_e32 v3, s22
	s_sub_i32 s6, 0, s22
	v_mov_b32_e32 v7, v2
	v_rcp_iflag_f32_e32 v3, v3
	v_mul_f32_e32 v3, 0x4f7ffffe, v3
	v_cvt_u32_f32_e32 v3, v3
	v_mul_lo_u32 v4, s6, v3
	v_mul_hi_u32 v4, v3, v4
	v_add_u32_e32 v3, v3, v4
	v_mul_hi_u32 v3, v0, v3
	v_mul_lo_u32 v4, v3, s22
	v_add_u32_e32 v5, 1, v3
	v_sub_u32_e32 v4, v0, v4
	v_subrev_u32_e32 v6, s22, v4
	v_cmp_le_u32_e32 vcc, s22, v4
	v_cndmask_b32_e32 v4, v4, v6, vcc
	v_cndmask_b32_e32 v3, v3, v5, vcc
	v_add_u32_e32 v5, 1, v3
	v_cmp_le_u32_e32 vcc, s22, v4
	v_cndmask_b32_e32 v6, v3, v5, vcc
.LBB18_7:                               ;   in Loop: Header=BB18_3 Depth=1
	s_or_b64 exec, exec, s[4:5]
	v_mov_b32_e32 v3, s33
	v_add_co_u32_e32 v10, vcc, s60, v6
	v_addc_co_u32_e32 v11, vcc, v7, v3, vcc
	v_cmp_le_i64_e32 vcc, s[36:37], v[10:11]
	v_mov_b32_e32 v4, 0
	v_mov_b32_e32 v5, 0
	s_and_saveexec_b64 s[6:7], vcc
	s_cbranch_execz .LBB18_13
; %bb.8:                                ;   in Loop: Header=BB18_3 Depth=1
	v_mov_b32_e32 v3, s37
	v_subrev_co_u32_e32 v8, vcc, s36, v10
	v_subb_co_u32_e32 v9, vcc, v11, v3, vcc
	v_or_b32_e32 v3, s61, v9
	v_cmp_ne_u64_e32 vcc, 0, v[2:3]
                                        ; implicit-def: $vgpr4_vgpr5
	s_and_saveexec_b64 s[4:5], vcc
	s_xor_b64 s[10:11], exec, s[4:5]
	s_cbranch_execz .LBB18_10
; %bb.9:                                ;   in Loop: Header=BB18_3 Depth=1
	s_ashr_i32 s48, s61, 31
	s_add_u32 s4, s62, s48
	s_mov_b32 s49, s48
	s_addc_u32 s5, s61, s48
	s_xor_b64 s[50:51], s[4:5], s[48:49]
	v_cvt_f32_u32_e32 v3, s50
	v_cvt_f32_u32_e32 v4, s51
	s_sub_u32 s49, 0, s50
	s_subb_u32 s52, 0, s51
	v_ashrrev_i32_e32 v5, 31, v9
	v_mac_f32_e32 v3, 0x4f800000, v4
	v_rcp_f32_e32 v3, v3
	v_mul_f32_e32 v3, 0x5f7ffffc, v3
	v_mul_f32_e32 v4, 0x2f800000, v3
	v_trunc_f32_e32 v4, v4
	v_mac_f32_e32 v3, 0xcf800000, v4
	v_cvt_u32_f32_e32 v4, v4
	v_cvt_u32_f32_e32 v3, v3
	v_readfirstlane_b32 s53, v4
	v_readfirstlane_b32 s4, v3
	s_mul_i32 s5, s49, s53
	s_mul_hi_u32 s55, s49, s4
	s_mul_i32 s54, s52, s4
	s_add_i32 s5, s55, s5
	s_add_i32 s5, s5, s54
	s_mul_i32 s56, s49, s4
	s_mul_i32 s55, s4, s5
	s_mul_hi_u32 s57, s4, s56
	s_mul_hi_u32 s54, s4, s5
	s_add_u32 s55, s57, s55
	s_addc_u32 s54, 0, s54
	s_mul_hi_u32 s58, s53, s56
	s_mul_i32 s56, s53, s56
	s_add_u32 s55, s55, s56
	s_mul_hi_u32 s57, s53, s5
	s_addc_u32 s54, s54, s58
	s_addc_u32 s55, s57, 0
	s_mul_i32 s5, s53, s5
	s_add_u32 s5, s54, s5
	s_addc_u32 s54, 0, s55
	s_add_u32 s55, s4, s5
	s_cselect_b64 s[4:5], -1, 0
	s_cmp_lg_u64 s[4:5], 0
	s_addc_u32 s53, s53, s54
	s_mul_i32 s4, s49, s53
	s_mul_hi_u32 s5, s49, s55
	s_add_i32 s4, s5, s4
	s_mul_i32 s52, s52, s55
	s_add_i32 s4, s4, s52
	s_mul_i32 s49, s49, s55
	s_mul_hi_u32 s52, s53, s49
	s_mul_i32 s54, s53, s49
	s_mul_i32 s57, s55, s4
	s_mul_hi_u32 s49, s55, s49
	s_mul_hi_u32 s56, s55, s4
	s_add_u32 s49, s49, s57
	s_addc_u32 s56, 0, s56
	s_add_u32 s49, s49, s54
	s_mul_hi_u32 s5, s53, s4
	s_addc_u32 s49, s56, s52
	s_addc_u32 s5, s5, 0
	s_mul_i32 s4, s53, s4
	s_add_u32 s4, s49, s4
	s_addc_u32 s49, 0, s5
	s_add_u32 s52, s55, s4
	s_cselect_b64 s[4:5], -1, 0
	s_cmp_lg_u64 s[4:5], 0
	v_add_co_u32_e32 v3, vcc, v8, v5
	s_addc_u32 s49, s53, s49
	v_xor_b32_e32 v12, v3, v5
	v_addc_co_u32_e32 v8, vcc, v9, v5, vcc
	v_mad_u64_u32 v[3:4], s[4:5], v12, s49, 0
	v_mul_hi_u32 v9, v12, s52
	v_xor_b32_e32 v13, v8, v5
	v_xor_b32_e32 v5, s48, v5
	v_add_co_u32_e32 v14, vcc, v9, v3
	v_addc_co_u32_e32 v15, vcc, 0, v4, vcc
	v_mad_u64_u32 v[3:4], s[4:5], v13, s52, 0
	v_mad_u64_u32 v[8:9], s[4:5], v13, s49, 0
	v_add_co_u32_e32 v3, vcc, v14, v3
	v_addc_co_u32_e32 v3, vcc, v15, v4, vcc
	v_addc_co_u32_e32 v4, vcc, 0, v9, vcc
	v_add_co_u32_e32 v8, vcc, v3, v8
	v_addc_co_u32_e32 v9, vcc, 0, v4, vcc
	v_mul_lo_u32 v14, s51, v8
	v_mul_lo_u32 v15, s50, v9
	v_mad_u64_u32 v[3:4], s[4:5], s50, v8, 0
	v_add3_u32 v4, v4, v15, v14
	v_sub_u32_e32 v14, v13, v4
	v_mov_b32_e32 v15, s51
	v_sub_co_u32_e32 v3, vcc, v12, v3
	v_subb_co_u32_e64 v12, s[4:5], v14, v15, vcc
	v_subrev_co_u32_e64 v14, s[4:5], s50, v3
	v_subbrev_co_u32_e64 v12, s[4:5], 0, v12, s[4:5]
	v_cmp_le_u32_e64 s[4:5], s51, v12
	v_cndmask_b32_e64 v15, 0, -1, s[4:5]
	v_cmp_le_u32_e64 s[4:5], s50, v14
	v_cndmask_b32_e64 v14, 0, -1, s[4:5]
	v_cmp_eq_u32_e64 s[4:5], s51, v12
	v_cndmask_b32_e64 v12, v15, v14, s[4:5]
	v_add_co_u32_e64 v14, s[4:5], 2, v8
	v_subb_co_u32_e32 v4, vcc, v13, v4, vcc
	v_addc_co_u32_e64 v15, s[4:5], 0, v9, s[4:5]
	v_cmp_le_u32_e32 vcc, s51, v4
	v_add_co_u32_e64 v16, s[4:5], 1, v8
	v_cndmask_b32_e64 v13, 0, -1, vcc
	v_cmp_le_u32_e32 vcc, s50, v3
	v_addc_co_u32_e64 v17, s[4:5], 0, v9, s[4:5]
	v_cndmask_b32_e64 v3, 0, -1, vcc
	v_cmp_eq_u32_e32 vcc, s51, v4
	v_cmp_ne_u32_e64 s[4:5], 0, v12
	v_cndmask_b32_e32 v3, v13, v3, vcc
	v_cmp_ne_u32_e32 vcc, 0, v3
	v_cndmask_b32_e64 v4, v16, v14, s[4:5]
	v_cndmask_b32_e64 v12, v17, v15, s[4:5]
	v_cndmask_b32_e32 v4, v8, v4, vcc
	v_cndmask_b32_e32 v3, v9, v12, vcc
	v_xor_b32_e32 v4, v4, v5
	v_xor_b32_e32 v3, v3, v5
	v_sub_co_u32_e32 v4, vcc, v4, v5
	v_subb_co_u32_e32 v5, vcc, v3, v5, vcc
                                        ; implicit-def: $vgpr8
.LBB18_10:                              ;   in Loop: Header=BB18_3 Depth=1
	s_andn2_saveexec_b64 s[4:5], s[10:11]
	s_cbranch_execz .LBB18_12
; %bb.11:                               ;   in Loop: Header=BB18_3 Depth=1
	v_cvt_f32_u32_e32 v3, s62
	s_sub_i32 s10, 0, s62
	v_rcp_iflag_f32_e32 v3, v3
	v_mul_f32_e32 v3, 0x4f7ffffe, v3
	v_cvt_u32_f32_e32 v3, v3
	v_mul_lo_u32 v4, s10, v3
	v_mul_hi_u32 v4, v3, v4
	v_add_u32_e32 v3, v3, v4
	v_mul_hi_u32 v3, v8, v3
	v_mul_lo_u32 v4, v3, s62
	v_add_u32_e32 v5, 1, v3
	v_sub_u32_e32 v4, v8, v4
	v_subrev_u32_e32 v8, s62, v4
	v_cmp_le_u32_e32 vcc, s62, v4
	v_cndmask_b32_e32 v4, v4, v8, vcc
	v_cndmask_b32_e32 v3, v3, v5, vcc
	v_add_u32_e32 v5, 1, v3
	v_cmp_le_u32_e32 vcc, s62, v4
	v_cndmask_b32_e32 v4, v3, v5, vcc
	v_mov_b32_e32 v5, v2
.LBB18_12:                              ;   in Loop: Header=BB18_3 Depth=1
	s_or_b64 exec, exec, s[4:5]
	v_add_co_u32_e32 v4, vcc, 1, v4
	v_addc_co_u32_e32 v5, vcc, 0, v5, vcc
.LBB18_13:                              ;   in Loop: Header=BB18_3 Depth=1
	s_or_b64 exec, exec, s[6:7]
	v_or_b32_e32 v3, s61, v11
	v_cmp_ne_u64_e32 vcc, 0, v[2:3]
                                        ; implicit-def: $vgpr8_vgpr9
	s_and_saveexec_b64 s[4:5], vcc
	s_xor_b64 s[6:7], exec, s[4:5]
	s_cbranch_execz .LBB18_15
; %bb.14:                               ;   in Loop: Header=BB18_3 Depth=1
	s_ashr_i32 s10, s61, 31
	s_add_u32 s4, s62, s10
	s_mov_b32 s11, s10
	s_addc_u32 s5, s61, s10
	s_xor_b64 s[48:49], s[4:5], s[10:11]
	v_cvt_f32_u32_e32 v3, s48
	v_cvt_f32_u32_e32 v8, s49
	s_sub_u32 s11, 0, s48
	s_subb_u32 s50, 0, s49
	v_mac_f32_e32 v3, 0x4f800000, v8
	v_rcp_f32_e32 v3, v3
	v_mul_f32_e32 v3, 0x5f7ffffc, v3
	v_mul_f32_e32 v8, 0x2f800000, v3
	v_trunc_f32_e32 v8, v8
	v_mac_f32_e32 v3, 0xcf800000, v8
	v_cvt_u32_f32_e32 v8, v8
	v_cvt_u32_f32_e32 v3, v3
	v_readfirstlane_b32 s51, v8
	v_readfirstlane_b32 s4, v3
	s_mul_i32 s5, s11, s51
	s_mul_hi_u32 s53, s11, s4
	s_mul_i32 s52, s50, s4
	s_add_i32 s5, s53, s5
	s_add_i32 s5, s5, s52
	s_mul_i32 s54, s11, s4
	s_mul_i32 s53, s4, s5
	s_mul_hi_u32 s55, s4, s54
	s_mul_hi_u32 s52, s4, s5
	s_add_u32 s53, s55, s53
	s_addc_u32 s52, 0, s52
	s_mul_hi_u32 s56, s51, s54
	s_mul_i32 s54, s51, s54
	s_add_u32 s53, s53, s54
	s_mul_hi_u32 s55, s51, s5
	s_addc_u32 s52, s52, s56
	s_addc_u32 s53, s55, 0
	s_mul_i32 s5, s51, s5
	s_add_u32 s5, s52, s5
	s_addc_u32 s52, 0, s53
	s_add_u32 s53, s4, s5
	s_cselect_b64 s[4:5], -1, 0
	s_cmp_lg_u64 s[4:5], 0
	s_addc_u32 s51, s51, s52
	s_mul_i32 s4, s11, s51
	s_mul_hi_u32 s5, s11, s53
	s_add_i32 s4, s5, s4
	s_mul_i32 s50, s50, s53
	s_add_i32 s4, s4, s50
	s_mul_i32 s11, s11, s53
	s_mul_hi_u32 s50, s51, s11
	s_mul_i32 s52, s51, s11
	s_mul_i32 s55, s53, s4
	s_mul_hi_u32 s11, s53, s11
	s_mul_hi_u32 s54, s53, s4
	s_add_u32 s11, s11, s55
	s_addc_u32 s54, 0, s54
	s_add_u32 s11, s11, s52
	s_mul_hi_u32 s5, s51, s4
	s_addc_u32 s11, s54, s50
	s_addc_u32 s5, s5, 0
	s_mul_i32 s4, s51, s4
	s_add_u32 s4, s11, s4
	s_addc_u32 s11, 0, s5
	s_add_u32 s50, s53, s4
	s_cselect_b64 s[4:5], -1, 0
	v_ashrrev_i32_e32 v3, 31, v11
	s_cmp_lg_u64 s[4:5], 0
	v_add_co_u32_e32 v8, vcc, v10, v3
	s_addc_u32 s11, s51, s11
	v_xor_b32_e32 v12, v8, v3
	v_addc_co_u32_e32 v10, vcc, v11, v3, vcc
	v_mad_u64_u32 v[8:9], s[4:5], v12, s11, 0
	v_mul_hi_u32 v11, v12, s50
	v_xor_b32_e32 v13, v10, v3
	v_xor_b32_e32 v3, s10, v3
	v_add_co_u32_e32 v14, vcc, v11, v8
	v_addc_co_u32_e32 v15, vcc, 0, v9, vcc
	v_mad_u64_u32 v[8:9], s[4:5], v13, s50, 0
	v_mad_u64_u32 v[10:11], s[4:5], v13, s11, 0
	v_add_co_u32_e32 v8, vcc, v14, v8
	v_addc_co_u32_e32 v8, vcc, v15, v9, vcc
	v_addc_co_u32_e32 v9, vcc, 0, v11, vcc
	v_add_co_u32_e32 v10, vcc, v8, v10
	v_addc_co_u32_e32 v11, vcc, 0, v9, vcc
	v_mul_lo_u32 v14, s49, v10
	v_mul_lo_u32 v15, s48, v11
	v_mad_u64_u32 v[8:9], s[4:5], s48, v10, 0
	v_add3_u32 v9, v9, v15, v14
	v_sub_u32_e32 v14, v13, v9
	v_mov_b32_e32 v15, s49
	v_sub_co_u32_e32 v8, vcc, v12, v8
	v_subb_co_u32_e64 v12, s[4:5], v14, v15, vcc
	v_subrev_co_u32_e64 v14, s[4:5], s48, v8
	v_subbrev_co_u32_e64 v12, s[4:5], 0, v12, s[4:5]
	v_cmp_le_u32_e64 s[4:5], s49, v12
	v_cndmask_b32_e64 v15, 0, -1, s[4:5]
	v_cmp_le_u32_e64 s[4:5], s48, v14
	v_cndmask_b32_e64 v14, 0, -1, s[4:5]
	v_cmp_eq_u32_e64 s[4:5], s49, v12
	v_cndmask_b32_e64 v12, v15, v14, s[4:5]
	v_add_co_u32_e64 v14, s[4:5], 2, v10
	v_subb_co_u32_e32 v9, vcc, v13, v9, vcc
	v_addc_co_u32_e64 v15, s[4:5], 0, v11, s[4:5]
	v_cmp_le_u32_e32 vcc, s49, v9
	v_add_co_u32_e64 v16, s[4:5], 1, v10
	v_cndmask_b32_e64 v13, 0, -1, vcc
	v_cmp_le_u32_e32 vcc, s48, v8
	v_addc_co_u32_e64 v17, s[4:5], 0, v11, s[4:5]
	v_cndmask_b32_e64 v8, 0, -1, vcc
	v_cmp_eq_u32_e32 vcc, s49, v9
	v_cmp_ne_u32_e64 s[4:5], 0, v12
	v_cndmask_b32_e32 v8, v13, v8, vcc
	v_cndmask_b32_e64 v12, v17, v15, s[4:5]
	v_cmp_ne_u32_e32 vcc, 0, v8
	v_cndmask_b32_e64 v9, v16, v14, s[4:5]
	v_cndmask_b32_e32 v8, v11, v12, vcc
	v_cndmask_b32_e32 v9, v10, v9, vcc
	v_xor_b32_e32 v10, v8, v3
	v_xor_b32_e32 v8, v9, v3
	v_sub_co_u32_e32 v8, vcc, v8, v3
	v_subb_co_u32_e32 v9, vcc, v10, v3, vcc
                                        ; implicit-def: $vgpr10
.LBB18_15:                              ;   in Loop: Header=BB18_3 Depth=1
	s_andn2_saveexec_b64 s[4:5], s[6:7]
	s_cbranch_execz .LBB18_17
; %bb.16:                               ;   in Loop: Header=BB18_3 Depth=1
	v_cvt_f32_u32_e32 v3, s62
	s_sub_i32 s6, 0, s62
	v_rcp_iflag_f32_e32 v3, v3
	v_mul_f32_e32 v3, 0x4f7ffffe, v3
	v_cvt_u32_f32_e32 v3, v3
	v_mul_lo_u32 v8, s6, v3
	v_mul_hi_u32 v8, v3, v8
	v_add_u32_e32 v3, v3, v8
	v_mul_hi_u32 v3, v10, v3
	v_mul_lo_u32 v8, v3, s62
	v_add_u32_e32 v9, 1, v3
	v_sub_u32_e32 v8, v10, v8
	v_subrev_u32_e32 v10, s62, v8
	v_cmp_le_u32_e32 vcc, s62, v8
	v_cndmask_b32_e32 v8, v8, v10, vcc
	v_cndmask_b32_e32 v3, v3, v9, vcc
	v_add_u32_e32 v9, 1, v3
	v_cmp_le_u32_e32 vcc, s62, v8
	v_cndmask_b32_e32 v8, v3, v9, vcc
	v_mov_b32_e32 v9, v2
.LBB18_17:                              ;   in Loop: Header=BB18_3 Depth=1
	s_or_b64 exec, exec, s[4:5]
	v_mul_lo_u32 v3, v7, s22
	v_mul_lo_u32 v10, v6, s23
	v_mad_u64_u32 v[6:7], s[4:5], v6, s22, 0
	v_add3_u32 v3, v7, v10, v3
	v_sub_co_u32_e32 v6, vcc, v0, v6
	v_subb_co_u32_e32 v3, vcc, v1, v3, vcc
	v_mov_b32_e32 v7, s63
	v_add_co_u32_e32 v10, vcc, s64, v6
	v_addc_co_u32_e32 v11, vcc, v3, v7, vcc
	v_cmp_le_i64_e32 vcc, s[38:39], v[10:11]
	v_mov_b32_e32 v6, 0
	v_mov_b32_e32 v7, 0
	s_and_saveexec_b64 s[6:7], vcc
	s_cbranch_execz .LBB18_23
; %bb.18:                               ;   in Loop: Header=BB18_3 Depth=1
	v_mov_b32_e32 v3, s39
	v_subrev_co_u32_e32 v12, vcc, s38, v10
	v_subb_co_u32_e32 v13, vcc, v11, v3, vcc
	v_or_b32_e32 v3, s65, v13
	v_cmp_ne_u64_e32 vcc, 0, v[2:3]
                                        ; implicit-def: $vgpr6_vgpr7
	s_and_saveexec_b64 s[4:5], vcc
	s_xor_b64 s[10:11], exec, s[4:5]
	s_cbranch_execz .LBB18_20
; %bb.19:                               ;   in Loop: Header=BB18_3 Depth=1
	s_ashr_i32 s48, s65, 31
	s_add_u32 s4, s66, s48
	s_mov_b32 s49, s48
	s_addc_u32 s5, s65, s48
	s_xor_b64 s[50:51], s[4:5], s[48:49]
	v_cvt_f32_u32_e32 v3, s50
	v_cvt_f32_u32_e32 v6, s51
	s_sub_u32 s49, 0, s50
	s_subb_u32 s52, 0, s51
	v_mac_f32_e32 v3, 0x4f800000, v6
	v_rcp_f32_e32 v3, v3
	v_mul_f32_e32 v3, 0x5f7ffffc, v3
	v_mul_f32_e32 v6, 0x2f800000, v3
	v_trunc_f32_e32 v6, v6
	v_mac_f32_e32 v3, 0xcf800000, v6
	v_cvt_u32_f32_e32 v6, v6
	v_cvt_u32_f32_e32 v3, v3
	v_readfirstlane_b32 s53, v6
	v_readfirstlane_b32 s4, v3
	s_mul_i32 s5, s49, s53
	s_mul_hi_u32 s55, s49, s4
	s_mul_i32 s54, s52, s4
	s_add_i32 s5, s55, s5
	s_add_i32 s5, s5, s54
	s_mul_i32 s56, s49, s4
	s_mul_i32 s55, s4, s5
	s_mul_hi_u32 s57, s4, s56
	s_mul_hi_u32 s54, s4, s5
	s_add_u32 s55, s57, s55
	s_addc_u32 s54, 0, s54
	s_mul_hi_u32 s58, s53, s56
	s_mul_i32 s56, s53, s56
	s_add_u32 s55, s55, s56
	s_mul_hi_u32 s57, s53, s5
	s_addc_u32 s54, s54, s58
	s_addc_u32 s55, s57, 0
	s_mul_i32 s5, s53, s5
	s_add_u32 s5, s54, s5
	s_addc_u32 s54, 0, s55
	s_add_u32 s55, s4, s5
	s_cselect_b64 s[4:5], -1, 0
	s_cmp_lg_u64 s[4:5], 0
	s_addc_u32 s53, s53, s54
	s_mul_i32 s4, s49, s53
	s_mul_hi_u32 s5, s49, s55
	s_add_i32 s4, s5, s4
	s_mul_i32 s52, s52, s55
	s_add_i32 s4, s4, s52
	s_mul_i32 s49, s49, s55
	s_mul_hi_u32 s52, s53, s49
	s_mul_i32 s54, s53, s49
	s_mul_i32 s57, s55, s4
	s_mul_hi_u32 s49, s55, s49
	s_mul_hi_u32 s56, s55, s4
	s_add_u32 s49, s49, s57
	s_addc_u32 s56, 0, s56
	s_add_u32 s49, s49, s54
	s_mul_hi_u32 s5, s53, s4
	s_addc_u32 s49, s56, s52
	s_addc_u32 s5, s5, 0
	s_mul_i32 s4, s53, s4
	s_add_u32 s4, s49, s4
	s_addc_u32 s49, 0, s5
	s_add_u32 s52, s55, s4
	s_cselect_b64 s[4:5], -1, 0
	v_ashrrev_i32_e32 v3, 31, v13
	s_cmp_lg_u64 s[4:5], 0
	v_add_co_u32_e32 v6, vcc, v12, v3
	s_addc_u32 s49, s53, s49
	v_xor_b32_e32 v14, v6, v3
	v_addc_co_u32_e32 v12, vcc, v13, v3, vcc
	v_mad_u64_u32 v[6:7], s[4:5], v14, s49, 0
	v_mul_hi_u32 v13, v14, s52
	v_xor_b32_e32 v15, v12, v3
	v_xor_b32_e32 v3, s48, v3
	v_add_co_u32_e32 v16, vcc, v13, v6
	v_addc_co_u32_e32 v17, vcc, 0, v7, vcc
	v_mad_u64_u32 v[6:7], s[4:5], v15, s52, 0
	v_mad_u64_u32 v[12:13], s[4:5], v15, s49, 0
	v_add_co_u32_e32 v6, vcc, v16, v6
	v_addc_co_u32_e32 v6, vcc, v17, v7, vcc
	v_addc_co_u32_e32 v7, vcc, 0, v13, vcc
	v_add_co_u32_e32 v12, vcc, v6, v12
	v_addc_co_u32_e32 v13, vcc, 0, v7, vcc
	v_mul_lo_u32 v16, s51, v12
	v_mul_lo_u32 v17, s50, v13
	v_mad_u64_u32 v[6:7], s[4:5], s50, v12, 0
	v_add3_u32 v7, v7, v17, v16
	v_sub_u32_e32 v16, v15, v7
	v_mov_b32_e32 v17, s51
	v_sub_co_u32_e32 v6, vcc, v14, v6
	v_subb_co_u32_e64 v14, s[4:5], v16, v17, vcc
	v_subrev_co_u32_e64 v16, s[4:5], s50, v6
	v_subbrev_co_u32_e64 v14, s[4:5], 0, v14, s[4:5]
	v_cmp_le_u32_e64 s[4:5], s51, v14
	v_cndmask_b32_e64 v17, 0, -1, s[4:5]
	v_cmp_le_u32_e64 s[4:5], s50, v16
	v_cndmask_b32_e64 v16, 0, -1, s[4:5]
	v_cmp_eq_u32_e64 s[4:5], s51, v14
	v_cndmask_b32_e64 v14, v17, v16, s[4:5]
	v_add_co_u32_e64 v16, s[4:5], 2, v12
	v_subb_co_u32_e32 v7, vcc, v15, v7, vcc
	v_addc_co_u32_e64 v17, s[4:5], 0, v13, s[4:5]
	v_cmp_le_u32_e32 vcc, s51, v7
	v_add_co_u32_e64 v18, s[4:5], 1, v12
	v_cndmask_b32_e64 v15, 0, -1, vcc
	v_cmp_le_u32_e32 vcc, s50, v6
	v_addc_co_u32_e64 v19, s[4:5], 0, v13, s[4:5]
	v_cndmask_b32_e64 v6, 0, -1, vcc
	v_cmp_eq_u32_e32 vcc, s51, v7
	v_cmp_ne_u32_e64 s[4:5], 0, v14
	v_cndmask_b32_e32 v6, v15, v6, vcc
	v_cndmask_b32_e64 v14, v19, v17, s[4:5]
	v_cmp_ne_u32_e32 vcc, 0, v6
	v_cndmask_b32_e64 v7, v18, v16, s[4:5]
	v_cndmask_b32_e32 v6, v13, v14, vcc
	v_cndmask_b32_e32 v7, v12, v7, vcc
	v_xor_b32_e32 v12, v6, v3
	v_xor_b32_e32 v6, v7, v3
	v_sub_co_u32_e32 v6, vcc, v6, v3
	v_subb_co_u32_e32 v7, vcc, v12, v3, vcc
                                        ; implicit-def: $vgpr12
.LBB18_20:                              ;   in Loop: Header=BB18_3 Depth=1
	s_andn2_saveexec_b64 s[4:5], s[10:11]
	s_cbranch_execz .LBB18_22
; %bb.21:                               ;   in Loop: Header=BB18_3 Depth=1
	v_cvt_f32_u32_e32 v3, s66
	s_sub_i32 s10, 0, s66
	v_rcp_iflag_f32_e32 v3, v3
	v_mul_f32_e32 v3, 0x4f7ffffe, v3
	v_cvt_u32_f32_e32 v3, v3
	v_mul_lo_u32 v6, s10, v3
	v_mul_hi_u32 v6, v3, v6
	v_add_u32_e32 v3, v3, v6
	v_mul_hi_u32 v3, v12, v3
	v_mul_lo_u32 v6, v3, s66
	v_add_u32_e32 v7, 1, v3
	v_sub_u32_e32 v6, v12, v6
	v_subrev_u32_e32 v12, s66, v6
	v_cmp_le_u32_e32 vcc, s66, v6
	v_cndmask_b32_e32 v6, v6, v12, vcc
	v_cndmask_b32_e32 v3, v3, v7, vcc
	v_add_u32_e32 v7, 1, v3
	v_cmp_le_u32_e32 vcc, s66, v6
	v_cndmask_b32_e32 v6, v3, v7, vcc
	v_mov_b32_e32 v7, v2
.LBB18_22:                              ;   in Loop: Header=BB18_3 Depth=1
	s_or_b64 exec, exec, s[4:5]
	v_add_co_u32_e32 v6, vcc, 1, v6
	v_addc_co_u32_e32 v7, vcc, 0, v7, vcc
.LBB18_23:                              ;   in Loop: Header=BB18_3 Depth=1
	s_or_b64 exec, exec, s[6:7]
	v_or_b32_e32 v3, s65, v11
	v_cmp_ne_u64_e32 vcc, 0, v[2:3]
                                        ; implicit-def: $vgpr12_vgpr13
	s_and_saveexec_b64 s[4:5], vcc
	s_xor_b64 s[6:7], exec, s[4:5]
	s_cbranch_execnz .LBB18_26
; %bb.24:                               ;   in Loop: Header=BB18_3 Depth=1
	s_andn2_saveexec_b64 s[4:5], s[6:7]
	s_cbranch_execnz .LBB18_27
.LBB18_25:                              ;   in Loop: Header=BB18_3 Depth=1
	s_or_b64 exec, exec, s[4:5]
	s_andn2_b64 vcc, exec, s[0:1]
	s_cbranch_vccnz .LBB18_2
	s_branch .LBB18_28
.LBB18_26:                              ;   in Loop: Header=BB18_3 Depth=1
	s_ashr_i32 s10, s65, 31
	s_add_u32 s4, s66, s10
	s_mov_b32 s11, s10
	s_addc_u32 s5, s65, s10
	s_xor_b64 s[48:49], s[4:5], s[10:11]
	v_cvt_f32_u32_e32 v3, s48
	v_cvt_f32_u32_e32 v12, s49
	s_sub_u32 s11, 0, s48
	s_subb_u32 s50, 0, s49
	v_mac_f32_e32 v3, 0x4f800000, v12
	v_rcp_f32_e32 v3, v3
	v_mul_f32_e32 v3, 0x5f7ffffc, v3
	v_mul_f32_e32 v12, 0x2f800000, v3
	v_trunc_f32_e32 v12, v12
	v_mac_f32_e32 v3, 0xcf800000, v12
	v_cvt_u32_f32_e32 v12, v12
	v_cvt_u32_f32_e32 v3, v3
	v_readfirstlane_b32 s51, v12
	v_readfirstlane_b32 s4, v3
	s_mul_i32 s5, s11, s51
	s_mul_hi_u32 s53, s11, s4
	s_mul_i32 s52, s50, s4
	s_add_i32 s5, s53, s5
	s_add_i32 s5, s5, s52
	s_mul_i32 s54, s11, s4
	s_mul_i32 s53, s4, s5
	s_mul_hi_u32 s55, s4, s54
	s_mul_hi_u32 s52, s4, s5
	s_add_u32 s53, s55, s53
	s_addc_u32 s52, 0, s52
	s_mul_hi_u32 s56, s51, s54
	s_mul_i32 s54, s51, s54
	s_add_u32 s53, s53, s54
	s_mul_hi_u32 s55, s51, s5
	s_addc_u32 s52, s52, s56
	s_addc_u32 s53, s55, 0
	s_mul_i32 s5, s51, s5
	s_add_u32 s5, s52, s5
	s_addc_u32 s52, 0, s53
	s_add_u32 s53, s4, s5
	s_cselect_b64 s[4:5], -1, 0
	s_cmp_lg_u64 s[4:5], 0
	s_addc_u32 s51, s51, s52
	s_mul_i32 s4, s11, s51
	s_mul_hi_u32 s5, s11, s53
	s_add_i32 s4, s5, s4
	s_mul_i32 s50, s50, s53
	s_add_i32 s4, s4, s50
	s_mul_i32 s11, s11, s53
	s_mul_hi_u32 s50, s51, s11
	s_mul_i32 s52, s51, s11
	s_mul_i32 s55, s53, s4
	s_mul_hi_u32 s11, s53, s11
	s_mul_hi_u32 s54, s53, s4
	s_add_u32 s11, s11, s55
	s_addc_u32 s54, 0, s54
	s_add_u32 s11, s11, s52
	s_mul_hi_u32 s5, s51, s4
	s_addc_u32 s11, s54, s50
	s_addc_u32 s5, s5, 0
	s_mul_i32 s4, s51, s4
	s_add_u32 s4, s11, s4
	s_addc_u32 s11, 0, s5
	s_add_u32 s50, s53, s4
	s_cselect_b64 s[4:5], -1, 0
	v_ashrrev_i32_e32 v3, 31, v11
	s_cmp_lg_u64 s[4:5], 0
	v_add_co_u32_e32 v10, vcc, v10, v3
	s_addc_u32 s11, s51, s11
	v_xor_b32_e32 v14, v10, v3
	v_addc_co_u32_e32 v12, vcc, v11, v3, vcc
	v_mad_u64_u32 v[10:11], s[4:5], v14, s11, 0
	v_mul_hi_u32 v13, v14, s50
	v_xor_b32_e32 v15, v12, v3
	v_xor_b32_e32 v3, s10, v3
	v_add_co_u32_e32 v16, vcc, v13, v10
	v_addc_co_u32_e32 v17, vcc, 0, v11, vcc
	v_mad_u64_u32 v[10:11], s[4:5], v15, s50, 0
	v_mad_u64_u32 v[12:13], s[4:5], v15, s11, 0
	v_add_co_u32_e32 v10, vcc, v16, v10
	v_addc_co_u32_e32 v10, vcc, v17, v11, vcc
	v_addc_co_u32_e32 v11, vcc, 0, v13, vcc
	v_add_co_u32_e32 v12, vcc, v10, v12
	v_addc_co_u32_e32 v13, vcc, 0, v11, vcc
	v_mul_lo_u32 v16, s49, v12
	v_mul_lo_u32 v17, s48, v13
	v_mad_u64_u32 v[10:11], s[4:5], s48, v12, 0
	v_add3_u32 v11, v11, v17, v16
	v_sub_u32_e32 v16, v15, v11
	v_mov_b32_e32 v17, s49
	v_sub_co_u32_e32 v10, vcc, v14, v10
	v_subb_co_u32_e64 v14, s[4:5], v16, v17, vcc
	v_subrev_co_u32_e64 v16, s[4:5], s48, v10
	v_subbrev_co_u32_e64 v14, s[4:5], 0, v14, s[4:5]
	v_cmp_le_u32_e64 s[4:5], s49, v14
	v_cndmask_b32_e64 v17, 0, -1, s[4:5]
	v_cmp_le_u32_e64 s[4:5], s48, v16
	v_cndmask_b32_e64 v16, 0, -1, s[4:5]
	v_cmp_eq_u32_e64 s[4:5], s49, v14
	v_cndmask_b32_e64 v14, v17, v16, s[4:5]
	v_add_co_u32_e64 v16, s[4:5], 2, v12
	v_subb_co_u32_e32 v11, vcc, v15, v11, vcc
	v_addc_co_u32_e64 v17, s[4:5], 0, v13, s[4:5]
	v_cmp_le_u32_e32 vcc, s49, v11
	v_add_co_u32_e64 v18, s[4:5], 1, v12
	v_cndmask_b32_e64 v15, 0, -1, vcc
	v_cmp_le_u32_e32 vcc, s48, v10
	v_addc_co_u32_e64 v19, s[4:5], 0, v13, s[4:5]
	v_cndmask_b32_e64 v10, 0, -1, vcc
	v_cmp_eq_u32_e32 vcc, s49, v11
	v_cmp_ne_u32_e64 s[4:5], 0, v14
	v_cndmask_b32_e32 v10, v15, v10, vcc
	v_cmp_ne_u32_e32 vcc, 0, v10
	v_cndmask_b32_e64 v11, v18, v16, s[4:5]
	v_cndmask_b32_e64 v14, v19, v17, s[4:5]
	v_cndmask_b32_e32 v11, v12, v11, vcc
	v_cndmask_b32_e32 v10, v13, v14, vcc
	v_xor_b32_e32 v11, v11, v3
	v_xor_b32_e32 v10, v10, v3
	v_sub_co_u32_e32 v12, vcc, v11, v3
	v_subb_co_u32_e32 v13, vcc, v10, v3, vcc
                                        ; implicit-def: $vgpr10
	s_andn2_saveexec_b64 s[4:5], s[6:7]
	s_cbranch_execz .LBB18_25
.LBB18_27:                              ;   in Loop: Header=BB18_3 Depth=1
	v_cvt_f32_u32_e32 v3, s66
	s_sub_i32 s6, 0, s66
	v_mov_b32_e32 v13, v2
	v_rcp_iflag_f32_e32 v3, v3
	v_mul_f32_e32 v3, 0x4f7ffffe, v3
	v_cvt_u32_f32_e32 v3, v3
	v_mul_lo_u32 v11, s6, v3
	v_mul_hi_u32 v11, v3, v11
	v_add_u32_e32 v3, v3, v11
	v_mul_hi_u32 v3, v10, v3
	v_mul_lo_u32 v11, v3, s66
	v_add_u32_e32 v12, 1, v3
	v_sub_u32_e32 v10, v10, v11
	v_subrev_u32_e32 v11, s66, v10
	v_cmp_le_u32_e32 vcc, s66, v10
	v_cndmask_b32_e32 v10, v10, v11, vcc
	v_cndmask_b32_e32 v3, v3, v12, vcc
	v_add_u32_e32 v11, 1, v3
	v_cmp_le_u32_e32 vcc, s66, v10
	v_cndmask_b32_e32 v12, v3, v11, vcc
	s_or_b64 exec, exec, s[4:5]
	s_andn2_b64 vcc, exec, s[0:1]
	s_cbranch_vccnz .LBB18_2
.LBB18_28:                              ;   in Loop: Header=BB18_3 Depth=1
	v_add_co_u32_e32 v10, vcc, 1, v12
	v_addc_co_u32_e32 v11, vcc, 0, v13, vcc
	v_cmp_gt_i64_e32 vcc, s[26:27], v[10:11]
	v_mov_b32_e32 v3, s27
	v_cndmask_b32_e32 v11, v3, v11, vcc
	v_mov_b32_e32 v3, s26
	v_cndmask_b32_e32 v10, v3, v10, vcc
	v_add_co_u32_e32 v8, vcc, 1, v8
	v_addc_co_u32_e32 v9, vcc, 0, v9, vcc
	v_cmp_gt_i64_e32 vcc, s[24:25], v[8:9]
	v_mov_b32_e32 v3, s25
	v_lshlrev_b64 v[12:13], 3, v[0:1]
	v_cndmask_b32_e32 v9, v3, v9, vcc
	v_mov_b32_e32 v3, s24
	v_cndmask_b32_e32 v8, v3, v8, vcc
	v_mov_b32_e32 v14, s35
	v_add_co_u32_e32 v3, vcc, s34, v12
	v_addc_co_u32_e32 v34, vcc, v14, v13, vcc
	v_mov_b32_e32 v12, s68
	v_add_co_u32_e32 v13, vcc, s69, v4
	v_addc_co_u32_e32 v12, vcc, v12, v5, vcc
	v_mul_lo_u32 v14, s26, v12
	v_mul_lo_u32 v15, s27, v13
	v_mad_u64_u32 v[12:13], s[4:5], s26, v13, v[6:7]
	s_load_dword s70, s[30:31], 0x4
	v_cmp_lt_i64_e64 s[4:5], v[4:5], v[8:9]
	v_add3_u32 v13, v15, v13, v14
	v_lshlrev_b64 v[14:15], 3, v[12:13]
	v_mov_b32_e32 v13, s15
	v_add_co_u32_e32 v12, vcc, s14, v14
	v_addc_co_u32_e32 v13, vcc, v13, v15, vcc
	v_cmp_lt_i64_e64 s[6:7], v[6:7], v[10:11]
	s_waitcnt lgkmcnt(0)
	s_mul_i32 s10, s41, s70
	s_mul_hi_u32 s11, s40, s70
	v_mov_b32_e32 v16, s13
	v_add_co_u32_e32 v14, vcc, s12, v14
	s_add_i32 s71, s11, s10
	s_mul_i32 s72, s40, s70
	v_addc_co_u32_e32 v15, vcc, v16, v15, vcc
	s_mov_b64 s[48:49], s[28:29]
	s_branch .LBB18_30
.LBB18_29:                              ;   in Loop: Header=BB18_30 Depth=2
	s_add_u32 s48, s48, s70
	v_mov_b32_e32 v18, s71
	v_add_co_u32_e32 v12, vcc, s72, v12
	v_mov_b32_e32 v16, s16
	s_addc_u32 s49, s49, 0
	v_addc_co_u32_e32 v13, vcc, v13, v18, vcc
	v_mov_b32_e32 v17, s17
	v_cmp_ge_i64_e32 vcc, s[48:49], v[16:17]
	v_add_co_u32_e64 v14, s[10:11], s72, v14
	v_addc_co_u32_e64 v15, s[10:11], v15, v18, s[10:11]
	s_cbranch_vccnz .LBB18_2
.LBB18_30:                              ;   Parent Loop BB18_3 Depth=1
                                        ; =>  This Loop Header: Depth=2
                                        ;       Child Loop BB18_34 Depth 3
                                        ;         Child Loop BB18_38 Depth 4
                                        ;           Child Loop BB18_41 Depth 5
	s_andn2_b64 vcc, exec, s[2:3]
	s_cbranch_vccnz .LBB18_29
; %bb.31:                               ;   in Loop: Header=BB18_30 Depth=2
	s_load_dword s73, s[30:31], 0x8
	s_mul_i32 s10, s48, s19
	s_mul_hi_u32 s11, s48, s18
	s_add_i32 s10, s11, s10
	s_mul_i32 s11, s49, s18
	s_add_i32 s74, s10, s11
	s_waitcnt lgkmcnt(0)
	s_mul_i32 s10, s43, s73
	s_mul_hi_u32 s11, s42, s73
	v_mov_b32_e32 v17, v15
	v_mov_b32_e32 v19, v13
	s_mul_i32 s75, s48, s18
	s_add_i32 s76, s11, s10
	s_mul_i32 s77, s42, s73
	v_mov_b32_e32 v16, v14
	v_mov_b32_e32 v18, v12
	s_mov_b64 s[50:51], s[8:9]
	s_branch .LBB18_34
.LBB18_32:                              ;   in Loop: Header=BB18_34 Depth=3
	s_or_b64 exec, exec, s[54:55]
.LBB18_33:                              ;   in Loop: Header=BB18_34 Depth=3
	s_or_b64 exec, exec, s[52:53]
	s_add_u32 s10, s50, s75
	s_addc_u32 s11, s51, s74
	s_mul_i32 s11, s20, s11
	s_mul_hi_u32 s52, s20, s10
	s_add_i32 s11, s52, s11
	s_mul_i32 s52, s21, s10
	s_add_i32 s11, s11, s52
	s_mul_i32 s10, s20, s10
	s_lshl_b64 s[10:11], s[10:11], 3
	v_mov_b32_e32 v23, s11
	v_add_co_u32_e32 v22, vcc, s10, v3
	v_addc_co_u32_e32 v23, vcc, v34, v23, vcc
	global_store_dwordx2 v[22:23], v[20:21], off
	s_add_u32 s50, s50, s73
	v_mov_b32_e32 v22, s76
	v_add_co_u32_e32 v18, vcc, s77, v18
	v_mov_b32_e32 v21, s19
	s_addc_u32 s51, s51, 0
	v_addc_co_u32_e32 v19, vcc, v19, v22, vcc
	v_mov_b32_e32 v20, s18
	v_cmp_ge_i64_e32 vcc, s[50:51], v[20:21]
	v_add_co_u32_e64 v16, s[10:11], s77, v16
	v_addc_co_u32_e64 v17, s[10:11], v17, v22, s[10:11]
	s_cbranch_vccnz .LBB18_29
.LBB18_34:                              ;   Parent Loop BB18_3 Depth=1
                                        ;     Parent Loop BB18_30 Depth=2
                                        ; =>    This Loop Header: Depth=3
                                        ;         Child Loop BB18_38 Depth 4
                                        ;           Child Loop BB18_41 Depth 5
	v_mov_b32_e32 v20, 0
	v_mov_b32_e32 v21, 0
	s_and_saveexec_b64 s[52:53], s[4:5]
	s_cbranch_execz .LBB18_33
; %bb.35:                               ;   in Loop: Header=BB18_34 Depth=3
	v_mov_b32_e32 v20, 0
	v_mov_b32_e32 v23, v17
	;; [unrolled: 1-line block ×5, first 2 shown]
	s_mov_b64 s[54:55], 0
	v_mov_b32_e32 v22, v16
	v_mov_b32_e32 v24, v18
	;; [unrolled: 1-line block ×3, first 2 shown]
	s_branch .LBB18_38
.LBB18_36:                              ;   in Loop: Header=BB18_38 Depth=4
	s_or_b64 exec, exec, s[58:59]
.LBB18_37:                              ;   in Loop: Header=BB18_38 Depth=4
	s_or_b64 exec, exec, s[56:57]
	v_add_co_u32_e32 v26, vcc, 1, v26
	v_addc_co_u32_e32 v27, vcc, 0, v27, vcc
	v_cmp_ge_i64_e32 vcc, v[26:27], v[8:9]
	v_mov_b32_e32 v28, s45
	v_add_co_u32_e64 v24, s[10:11], s44, v24
	s_or_b64 s[54:55], vcc, s[54:55]
	v_add_co_u32_e32 v22, vcc, s44, v22
	v_addc_co_u32_e64 v25, s[10:11], v25, v28, s[10:11]
	v_addc_co_u32_e32 v23, vcc, v23, v28, vcc
	s_andn2_b64 exec, exec, s[54:55]
	s_cbranch_execz .LBB18_32
.LBB18_38:                              ;   Parent Loop BB18_3 Depth=1
                                        ;     Parent Loop BB18_30 Depth=2
                                        ;       Parent Loop BB18_34 Depth=3
                                        ; =>      This Loop Header: Depth=4
                                        ;           Child Loop BB18_41 Depth 5
	s_and_saveexec_b64 s[56:57], s[6:7]
	s_cbranch_execz .LBB18_37
; %bb.39:                               ;   in Loop: Header=BB18_38 Depth=4
	v_mov_b32_e32 v29, v23
	v_mov_b32_e32 v31, v25
	;; [unrolled: 1-line block ×3, first 2 shown]
	s_mov_b64 s[58:59], 0
	v_mov_b32_e32 v28, v22
	v_mov_b32_e32 v30, v24
	;; [unrolled: 1-line block ×3, first 2 shown]
	s_branch .LBB18_41
.LBB18_40:                              ;   in Loop: Header=BB18_41 Depth=5
	s_or_b64 exec, exec, s[10:11]
	v_add_co_u32_e32 v32, vcc, 1, v32
	v_addc_co_u32_e32 v33, vcc, 0, v33, vcc
	v_cmp_ge_i64_e32 vcc, v[32:33], v[10:11]
	v_add_co_u32_e64 v30, s[10:11], 8, v30
	s_or_b64 s[58:59], vcc, s[58:59]
	v_add_co_u32_e32 v28, vcc, 8, v28
	v_addc_co_u32_e64 v31, s[10:11], 0, v31, s[10:11]
	v_addc_co_u32_e32 v29, vcc, 0, v29, vcc
	s_andn2_b64 exec, exec, s[58:59]
	s_cbranch_execz .LBB18_36
.LBB18_41:                              ;   Parent Loop BB18_3 Depth=1
                                        ;     Parent Loop BB18_30 Depth=2
                                        ;       Parent Loop BB18_34 Depth=3
                                        ;         Parent Loop BB18_38 Depth=4
                                        ; =>        This Inner Loop Header: Depth=5
	global_load_dwordx2 v[35:36], v[30:31], off
	s_waitcnt vmcnt(0)
	v_cmp_eq_u64_e32 vcc, v[35:36], v[0:1]
	s_and_saveexec_b64 s[10:11], vcc
	s_cbranch_execz .LBB18_40
; %bb.42:                               ;   in Loop: Header=BB18_41 Depth=5
	global_load_dwordx2 v[35:36], v[28:29], off
	s_waitcnt vmcnt(0)
	v_add_f64 v[20:21], v[20:21], v[35:36]
	s_branch .LBB18_40
.LBB18_43:
	s_endpgm
	.section	.rodata,"a",@progbits
	.p2align	6, 0x0
	.amdhsa_kernel _ZN2at6native12_GLOBAL__N_122max_pool_backward_nchwIddlEEvPKT_PKlT1_S8_S8_S8_S8_S8_iiiiiiiiPS3_
		.amdhsa_group_segment_fixed_size 0
		.amdhsa_private_segment_fixed_size 0
		.amdhsa_kernarg_size 360
		.amdhsa_user_sgpr_count 6
		.amdhsa_user_sgpr_private_segment_buffer 1
		.amdhsa_user_sgpr_dispatch_ptr 0
		.amdhsa_user_sgpr_queue_ptr 0
		.amdhsa_user_sgpr_kernarg_segment_ptr 1
		.amdhsa_user_sgpr_dispatch_id 0
		.amdhsa_user_sgpr_flat_scratch_init 0
		.amdhsa_user_sgpr_private_segment_size 0
		.amdhsa_uses_dynamic_stack 0
		.amdhsa_system_sgpr_private_segment_wavefront_offset 0
		.amdhsa_system_sgpr_workgroup_id_x 1
		.amdhsa_system_sgpr_workgroup_id_y 1
		.amdhsa_system_sgpr_workgroup_id_z 1
		.amdhsa_system_sgpr_workgroup_info 0
		.amdhsa_system_vgpr_workitem_id 0
		.amdhsa_next_free_vgpr 37
		.amdhsa_next_free_sgpr 78
		.amdhsa_reserve_vcc 1
		.amdhsa_reserve_flat_scratch 0
		.amdhsa_float_round_mode_32 0
		.amdhsa_float_round_mode_16_64 0
		.amdhsa_float_denorm_mode_32 3
		.amdhsa_float_denorm_mode_16_64 3
		.amdhsa_dx10_clamp 1
		.amdhsa_ieee_mode 1
		.amdhsa_fp16_overflow 0
		.amdhsa_exception_fp_ieee_invalid_op 0
		.amdhsa_exception_fp_denorm_src 0
		.amdhsa_exception_fp_ieee_div_zero 0
		.amdhsa_exception_fp_ieee_overflow 0
		.amdhsa_exception_fp_ieee_underflow 0
		.amdhsa_exception_fp_ieee_inexact 0
		.amdhsa_exception_int_div_zero 0
	.end_amdhsa_kernel
	.section	.text._ZN2at6native12_GLOBAL__N_122max_pool_backward_nchwIddlEEvPKT_PKlT1_S8_S8_S8_S8_S8_iiiiiiiiPS3_,"axG",@progbits,_ZN2at6native12_GLOBAL__N_122max_pool_backward_nchwIddlEEvPKT_PKlT1_S8_S8_S8_S8_S8_iiiiiiiiPS3_,comdat
.Lfunc_end18:
	.size	_ZN2at6native12_GLOBAL__N_122max_pool_backward_nchwIddlEEvPKT_PKlT1_S8_S8_S8_S8_S8_iiiiiiiiPS3_, .Lfunc_end18-_ZN2at6native12_GLOBAL__N_122max_pool_backward_nchwIddlEEvPKT_PKlT1_S8_S8_S8_S8_S8_iiiiiiiiPS3_
                                        ; -- End function
	.set _ZN2at6native12_GLOBAL__N_122max_pool_backward_nchwIddlEEvPKT_PKlT1_S8_S8_S8_S8_S8_iiiiiiiiPS3_.num_vgpr, 37
	.set _ZN2at6native12_GLOBAL__N_122max_pool_backward_nchwIddlEEvPKT_PKlT1_S8_S8_S8_S8_S8_iiiiiiiiPS3_.num_agpr, 0
	.set _ZN2at6native12_GLOBAL__N_122max_pool_backward_nchwIddlEEvPKT_PKlT1_S8_S8_S8_S8_S8_iiiiiiiiPS3_.numbered_sgpr, 78
	.set _ZN2at6native12_GLOBAL__N_122max_pool_backward_nchwIddlEEvPKT_PKlT1_S8_S8_S8_S8_S8_iiiiiiiiPS3_.num_named_barrier, 0
	.set _ZN2at6native12_GLOBAL__N_122max_pool_backward_nchwIddlEEvPKT_PKlT1_S8_S8_S8_S8_S8_iiiiiiiiPS3_.private_seg_size, 0
	.set _ZN2at6native12_GLOBAL__N_122max_pool_backward_nchwIddlEEvPKT_PKlT1_S8_S8_S8_S8_S8_iiiiiiiiPS3_.uses_vcc, 1
	.set _ZN2at6native12_GLOBAL__N_122max_pool_backward_nchwIddlEEvPKT_PKlT1_S8_S8_S8_S8_S8_iiiiiiiiPS3_.uses_flat_scratch, 0
	.set _ZN2at6native12_GLOBAL__N_122max_pool_backward_nchwIddlEEvPKT_PKlT1_S8_S8_S8_S8_S8_iiiiiiiiPS3_.has_dyn_sized_stack, 0
	.set _ZN2at6native12_GLOBAL__N_122max_pool_backward_nchwIddlEEvPKT_PKlT1_S8_S8_S8_S8_S8_iiiiiiiiPS3_.has_recursion, 0
	.set _ZN2at6native12_GLOBAL__N_122max_pool_backward_nchwIddlEEvPKT_PKlT1_S8_S8_S8_S8_S8_iiiiiiiiPS3_.has_indirect_call, 0
	.section	.AMDGPU.csdata,"",@progbits
; Kernel info:
; codeLenInByte = 4956
; TotalNumSgprs: 82
; NumVgprs: 37
; ScratchSize: 0
; MemoryBound: 1
; FloatMode: 240
; IeeeMode: 1
; LDSByteSize: 0 bytes/workgroup (compile time only)
; SGPRBlocks: 10
; VGPRBlocks: 9
; NumSGPRsForWavesPerEU: 82
; NumVGPRsForWavesPerEU: 37
; Occupancy: 6
; WaveLimiterHint : 0
; COMPUTE_PGM_RSRC2:SCRATCH_EN: 0
; COMPUTE_PGM_RSRC2:USER_SGPR: 6
; COMPUTE_PGM_RSRC2:TRAP_HANDLER: 0
; COMPUTE_PGM_RSRC2:TGID_X_EN: 1
; COMPUTE_PGM_RSRC2:TGID_Y_EN: 1
; COMPUTE_PGM_RSRC2:TGID_Z_EN: 1
; COMPUTE_PGM_RSRC2:TIDIG_COMP_CNT: 0
	.section	.text._ZN2at6native12_GLOBAL__N_122max_pool_backward_nhwcIffEEvPKT_PKlillliiiiiiiiiiiiiiiPS3_,"axG",@progbits,_ZN2at6native12_GLOBAL__N_122max_pool_backward_nhwcIffEEvPKT_PKlillliiiiiiiiiiiiiiiPS3_,comdat
	.globl	_ZN2at6native12_GLOBAL__N_122max_pool_backward_nhwcIffEEvPKT_PKlillliiiiiiiiiiiiiiiPS3_ ; -- Begin function _ZN2at6native12_GLOBAL__N_122max_pool_backward_nhwcIffEEvPKT_PKlillliiiiiiiiiiiiiiiPS3_
	.p2align	8
	.type	_ZN2at6native12_GLOBAL__N_122max_pool_backward_nhwcIffEEvPKT_PKlillliiiiiiiiiiiiiiiPS3_,@function
_ZN2at6native12_GLOBAL__N_122max_pool_backward_nhwcIffEEvPKT_PKlillliiiiiiiiiiiiiiiPS3_: ; @_ZN2at6native12_GLOBAL__N_122max_pool_backward_nhwcIffEEvPKT_PKlillliiiiiiiiiiiiiiiPS3_
; %bb.0:
	s_load_dword s40, s[4:5], 0x10
	s_load_dwordx4 s[0:3], s[4:5], 0x7c
	s_load_dwordx8 s[12:19], s[4:5], 0x30
	s_load_dwordx8 s[20:27], s[4:5], 0x50
	s_waitcnt lgkmcnt(0)
	v_cvt_f32_u32_e32 v3, s40
	s_lshr_b32 s56, s2, 16
	s_and_b32 s9, s2, 0xffff
	v_mad_u32_u24 v5, v2, s56, v1
	v_rcp_iflag_f32_e32 v3, v3
	s_and_b32 s33, s3, 0xffff
	v_mul_f32_e32 v3, 0x4f7ffffe, v3
	v_cvt_u32_f32_e32 v6, v3
	v_mad_u64_u32 v[3:4], s[2:3], v5, s9, v[0:1]
	s_sub_i32 s2, 0, s40
	v_readfirstlane_b32 s3, v6
	s_mul_i32 s2, s2, s3
	s_mul_hi_u32 s2, s3, s2
	s_add_i32 s3, s3, s2
	s_mul_i32 s2, s26, s9
	s_mul_i32 s28, s2, s56
	s_mul_i32 s28, s28, s33
	s_mul_hi_u32 s27, s6, s3
	v_cmp_gt_u32_e32 vcc, s28, v3
	s_and_saveexec_b64 s[2:3], vcc
	s_cbranch_execz .LBB19_3
; %bb.1:
	s_mul_i32 s29, s56, s9
	s_mul_i32 s29, s29, s33
	v_lshl_add_u32 v4, v3, 2, 0
	s_lshl_b32 s30, s29, 2
	s_mov_b64 s[10:11], 0
	v_mov_b32_e32 v6, 0
.LBB19_2:                               ; =>This Inner Loop Header: Depth=1
	v_add_u32_e32 v3, s29, v3
	v_cmp_le_u32_e32 vcc, s28, v3
	ds_write_b32 v4, v6
	s_or_b64 s[10:11], vcc, s[10:11]
	v_add_u32_e32 v4, s30, v4
	s_andn2_b64 exec, exec, s[10:11]
	s_cbranch_execnz .LBB19_2
.LBB19_3:
	s_or_b64 exec, exec, s[2:3]
	s_load_dwordx4 s[28:31], s[4:5], 0x18
	s_load_dwordx2 s[10:11], s[4:5], 0x28
	s_mov_b32 s38, s1
	s_mov_b32 s36, 0
	s_mov_b64 s[34:35], -1
	s_waitcnt lgkmcnt(0)
	s_add_u32 s1, s30, s1
	s_addc_u32 s2, s31, 0
	s_add_u32 s1, s1, -1
	s_addc_u32 s37, s2, -1
	s_cmp_lg_u64 s[36:37], 0
	s_barrier
	s_cbranch_scc0 .LBB19_60
; %bb.4:
	s_add_u32 s2, s38, 0
	s_addc_u32 s3, 0, 0
	s_xor_b64 s[2:3], s[2:3], 0
	v_cvt_f32_u32_e32 v3, s2
	v_cvt_f32_u32_e32 v4, s3
	s_sub_u32 s36, 0, s2
	s_subb_u32 s39, 0, s3
	v_madmk_f32 v3, v4, 0x4f800000, v3
	v_rcp_f32_e32 v3, v3
	v_mul_f32_e32 v3, 0x5f7ffffc, v3
	v_mul_f32_e32 v4, 0x2f800000, v3
	v_trunc_f32_e32 v4, v4
	v_madmk_f32 v3, v4, 0xcf800000, v3
	v_cvt_u32_f32_e32 v4, v4
	v_cvt_u32_f32_e32 v3, v3
	v_readfirstlane_b32 s41, v4
	v_readfirstlane_b32 s42, v3
	s_mul_i32 s43, s36, s41
	s_mul_hi_u32 s45, s36, s42
	s_mul_i32 s44, s39, s42
	s_add_i32 s43, s45, s43
	s_add_i32 s43, s43, s44
	s_mul_i32 s46, s36, s42
	s_mul_i32 s45, s42, s43
	s_mul_hi_u32 s47, s42, s46
	s_mul_hi_u32 s44, s42, s43
	s_add_u32 s45, s47, s45
	s_addc_u32 s44, 0, s44
	s_mul_hi_u32 s48, s41, s46
	s_mul_i32 s46, s41, s46
	s_add_u32 s45, s45, s46
	s_mul_hi_u32 s47, s41, s43
	s_addc_u32 s44, s44, s48
	s_addc_u32 s45, s47, 0
	s_mul_i32 s43, s41, s43
	s_add_u32 s43, s44, s43
	s_addc_u32 s44, 0, s45
	s_add_u32 s45, s42, s43
	s_cselect_b64 s[42:43], -1, 0
	s_cmp_lg_u64 s[42:43], 0
	s_addc_u32 s41, s41, s44
	s_mul_i32 s42, s36, s41
	s_mul_hi_u32 s43, s36, s45
	s_add_i32 s42, s43, s42
	s_mul_i32 s39, s39, s45
	s_add_i32 s42, s42, s39
	s_mul_i32 s36, s36, s45
	s_mul_hi_u32 s43, s41, s36
	s_mul_i32 s44, s41, s36
	s_mul_i32 s47, s45, s42
	s_mul_hi_u32 s36, s45, s36
	s_mul_hi_u32 s46, s45, s42
	s_add_u32 s36, s36, s47
	s_addc_u32 s46, 0, s46
	s_add_u32 s36, s36, s44
	s_mul_hi_u32 s39, s41, s42
	s_addc_u32 s36, s46, s43
	s_addc_u32 s39, s39, 0
	s_mul_i32 s42, s41, s42
	s_add_u32 s36, s36, s42
	s_addc_u32 s39, 0, s39
	s_add_u32 s44, s45, s36
	s_cselect_b64 s[42:43], -1, 0
	s_cmp_lg_u64 s[42:43], 0
	s_addc_u32 s39, s41, s39
	s_ashr_i32 s42, s37, 31
	s_add_u32 s36, s1, s42
	s_mov_b32 s43, s42
	s_addc_u32 s37, s37, s42
	s_xor_b64 s[36:37], s[36:37], s[42:43]
	s_mul_i32 s45, s36, s39
	s_mul_hi_u32 s46, s36, s44
	s_mul_hi_u32 s41, s36, s39
	s_add_u32 s45, s46, s45
	s_addc_u32 s41, 0, s41
	s_mul_hi_u32 s47, s37, s44
	s_mul_i32 s44, s37, s44
	s_add_u32 s44, s45, s44
	s_mul_hi_u32 s46, s37, s39
	s_addc_u32 s41, s41, s47
	s_addc_u32 s44, s46, 0
	s_mul_i32 s39, s37, s39
	s_add_u32 s39, s41, s39
	s_addc_u32 s41, 0, s44
	s_mul_i32 s44, s2, s41
	s_mul_hi_u32 s45, s2, s39
	s_add_i32 s44, s45, s44
	s_mul_i32 s45, s3, s39
	s_add_i32 s48, s44, s45
	s_sub_i32 s46, s37, s48
	s_mul_i32 s44, s2, s39
	s_sub_u32 s36, s36, s44
	s_cselect_b64 s[44:45], -1, 0
	s_cmp_lg_u64 s[44:45], 0
	s_subb_u32 s49, s46, s3
	s_sub_u32 s50, s36, s2
	s_cselect_b64 s[46:47], -1, 0
	s_cmp_lg_u64 s[46:47], 0
	s_subb_u32 s46, s49, 0
	s_cmp_ge_u32 s46, s3
	s_cselect_b32 s47, -1, 0
	s_cmp_ge_u32 s50, s2
	s_cselect_b32 s49, -1, 0
	s_cmp_eq_u32 s46, s3
	s_cselect_b32 s46, s49, s47
	s_add_u32 s47, s39, 1
	s_addc_u32 s49, s41, 0
	s_add_u32 s50, s39, 2
	s_addc_u32 s51, s41, 0
	s_cmp_lg_u32 s46, 0
	s_cselect_b32 s46, s50, s47
	s_cselect_b32 s47, s51, s49
	s_cmp_lg_u64 s[44:45], 0
	s_subb_u32 s37, s37, s48
	s_cmp_ge_u32 s37, s3
	s_cselect_b32 s44, -1, 0
	s_cmp_ge_u32 s36, s2
	s_cselect_b32 s2, -1, 0
	s_cmp_eq_u32 s37, s3
	s_cselect_b32 s2, s2, s44
	s_cmp_lg_u32 s2, 0
	s_cselect_b32 s3, s47, s41
	s_cselect_b32 s2, s46, s39
	s_xor_b64 s[36:37], s[42:43], 0
	s_xor_b64 s[2:3], s[2:3], s[36:37]
	s_sub_u32 s2, s2, s36
	s_subb_u32 s3, s3, s37
	s_cbranch_execnz .LBB19_6
.LBB19_5:
	v_cvt_f32_u32_e32 v3, s38
	s_sub_i32 s2, 0, s38
	s_mov_b32 s3, 0
	v_rcp_iflag_f32_e32 v3, v3
	v_mul_f32_e32 v3, 0x4f7ffffe, v3
	v_cvt_u32_f32_e32 v3, v3
	v_readfirstlane_b32 s34, v3
	s_mul_i32 s2, s2, s34
	s_mul_hi_u32 s2, s34, s2
	s_add_i32 s34, s34, s2
	s_mul_hi_u32 s2, s1, s34
	s_mul_i32 s35, s2, s38
	s_sub_i32 s1, s1, s35
	s_add_i32 s34, s2, 1
	s_sub_i32 s35, s1, s38
	s_cmp_ge_u32 s1, s38
	s_cselect_b32 s2, s34, s2
	s_cselect_b32 s1, s35, s1
	s_add_i32 s34, s2, 1
	s_cmp_ge_u32 s1, s38
	s_cselect_b32 s2, s34, s2
.LBB19_6:
	s_add_u32 s1, s10, s0
	s_addc_u32 s34, s11, 0
	s_add_u32 s1, s1, -1
	s_mov_b32 s38, 0
	s_addc_u32 s39, s34, -1
	s_cmp_lg_u64 s[38:39], 0
	s_mov_b64 s[34:35], -1
	s_cbranch_scc0 .LBB19_61
; %bb.7:
	s_add_u32 s34, s0, 0
	s_addc_u32 s35, 0, 0
	s_xor_b64 s[36:37], s[34:35], 0
	v_cvt_f32_u32_e32 v3, s36
	v_cvt_f32_u32_e32 v4, s37
	s_sub_u32 s38, 0, s36
	s_subb_u32 s41, 0, s37
	v_madmk_f32 v3, v4, 0x4f800000, v3
	v_rcp_f32_e32 v3, v3
	v_mul_f32_e32 v3, 0x5f7ffffc, v3
	v_mul_f32_e32 v4, 0x2f800000, v3
	v_trunc_f32_e32 v4, v4
	v_madmk_f32 v3, v4, 0xcf800000, v3
	v_cvt_u32_f32_e32 v4, v4
	v_cvt_u32_f32_e32 v3, v3
	v_readfirstlane_b32 s44, v4
	v_readfirstlane_b32 s42, v3
	s_mul_i32 s43, s38, s44
	s_mul_hi_u32 s46, s38, s42
	s_mul_i32 s45, s41, s42
	s_add_i32 s43, s46, s43
	s_add_i32 s43, s43, s45
	s_mul_i32 s47, s38, s42
	s_mul_i32 s46, s42, s43
	s_mul_hi_u32 s48, s42, s47
	s_mul_hi_u32 s45, s42, s43
	s_add_u32 s46, s48, s46
	s_addc_u32 s45, 0, s45
	s_mul_hi_u32 s49, s44, s47
	s_mul_i32 s47, s44, s47
	s_add_u32 s46, s46, s47
	s_mul_hi_u32 s48, s44, s43
	s_addc_u32 s45, s45, s49
	s_addc_u32 s46, s48, 0
	s_mul_i32 s43, s44, s43
	s_add_u32 s43, s45, s43
	s_addc_u32 s45, 0, s46
	s_add_u32 s46, s42, s43
	s_cselect_b64 s[42:43], -1, 0
	s_cmp_lg_u64 s[42:43], 0
	s_addc_u32 s44, s44, s45
	s_mul_i32 s42, s38, s44
	s_mul_hi_u32 s43, s38, s46
	s_add_i32 s42, s43, s42
	s_mul_i32 s41, s41, s46
	s_add_i32 s42, s42, s41
	s_mul_i32 s38, s38, s46
	s_mul_hi_u32 s43, s44, s38
	s_mul_i32 s45, s44, s38
	s_mul_i32 s48, s46, s42
	s_mul_hi_u32 s38, s46, s38
	s_mul_hi_u32 s47, s46, s42
	s_add_u32 s38, s38, s48
	s_addc_u32 s47, 0, s47
	s_add_u32 s38, s38, s45
	s_mul_hi_u32 s41, s44, s42
	s_addc_u32 s38, s47, s43
	s_addc_u32 s41, s41, 0
	s_mul_i32 s42, s44, s42
	s_add_u32 s38, s38, s42
	s_addc_u32 s41, 0, s41
	s_add_u32 s45, s46, s38
	s_cselect_b64 s[42:43], -1, 0
	s_cmp_lg_u64 s[42:43], 0
	s_addc_u32 s41, s44, s41
	s_ashr_i32 s42, s39, 31
	s_add_u32 s38, s1, s42
	s_mov_b32 s43, s42
	s_addc_u32 s39, s39, s42
	s_xor_b64 s[38:39], s[38:39], s[42:43]
	s_mul_i32 s46, s38, s41
	s_mul_hi_u32 s47, s38, s45
	s_mul_hi_u32 s44, s38, s41
	s_add_u32 s46, s47, s46
	s_addc_u32 s44, 0, s44
	s_mul_hi_u32 s48, s39, s45
	s_mul_i32 s45, s39, s45
	s_add_u32 s45, s46, s45
	s_mul_hi_u32 s47, s39, s41
	s_addc_u32 s44, s44, s48
	s_addc_u32 s45, s47, 0
	s_mul_i32 s41, s39, s41
	s_add_u32 s41, s44, s41
	s_addc_u32 s48, 0, s45
	s_mul_i32 s44, s36, s48
	s_mul_hi_u32 s45, s36, s41
	s_add_i32 s44, s45, s44
	s_mul_i32 s45, s37, s41
	s_add_i32 s49, s44, s45
	s_sub_i32 s46, s39, s49
	s_mul_i32 s44, s36, s41
	s_sub_u32 s38, s38, s44
	s_cselect_b64 s[44:45], -1, 0
	s_cmp_lg_u64 s[44:45], 0
	s_subb_u32 s50, s46, s37
	s_sub_u32 s51, s38, s36
	s_cselect_b64 s[46:47], -1, 0
	s_cmp_lg_u64 s[46:47], 0
	s_subb_u32 s46, s50, 0
	s_cmp_ge_u32 s46, s37
	s_cselect_b32 s47, -1, 0
	s_cmp_ge_u32 s51, s36
	s_cselect_b32 s50, -1, 0
	s_cmp_eq_u32 s46, s37
	s_cselect_b32 s46, s50, s47
	s_add_u32 s47, s41, 1
	s_addc_u32 s50, s48, 0
	s_add_u32 s51, s41, 2
	s_addc_u32 s52, s48, 0
	s_cmp_lg_u32 s46, 0
	s_cselect_b32 s46, s51, s47
	s_cselect_b32 s47, s52, s50
	s_cmp_lg_u64 s[44:45], 0
	s_subb_u32 s39, s39, s49
	s_cmp_ge_u32 s39, s37
	s_cselect_b32 s44, -1, 0
	s_cmp_ge_u32 s38, s36
	s_cselect_b32 s36, -1, 0
	s_cmp_eq_u32 s39, s37
	s_cselect_b32 s36, s36, s44
	s_cmp_lg_u32 s36, 0
	s_cselect_b32 s37, s47, s48
	s_cselect_b32 s36, s46, s41
	s_xor_b64 s[38:39], s[42:43], 0
	s_xor_b64 s[36:37], s[36:37], s[38:39]
	s_sub_u32 s36, s36, s38
	s_subb_u32 s37, s37, s39
	s_cbranch_execnz .LBB19_9
.LBB19_8:
	v_cvt_f32_u32_e32 v3, s0
	s_sub_i32 s34, 0, s0
	s_mov_b32 s37, 0
	v_rcp_iflag_f32_e32 v3, v3
	v_mul_f32_e32 v3, 0x4f7ffffe, v3
	v_cvt_u32_f32_e32 v3, v3
	v_readfirstlane_b32 s35, v3
	s_mul_i32 s34, s34, s35
	s_mul_hi_u32 s34, s35, s34
	s_add_i32 s35, s35, s34
	s_mul_hi_u32 s34, s1, s35
	s_mul_i32 s36, s34, s0
	s_sub_i32 s1, s1, s36
	s_add_i32 s35, s34, 1
	s_sub_i32 s36, s1, s0
	s_cmp_ge_u32 s1, s0
	s_cselect_b32 s34, s35, s34
	s_cselect_b32 s1, s36, s1
	s_add_i32 s35, s34, 1
	s_cmp_ge_u32 s1, s0
	s_cselect_b32 s36, s35, s34
.LBB19_9:
	s_mul_i32 s8, s8, s2
	v_add_u32_e32 v17, s8, v2
	s_bfe_i64 s[0:1], s[2:3], 0x200000
	v_ashrrev_i32_e32 v3, 31, v17
	v_mov_b32_e32 v4, s1
	v_add_co_u32_e32 v2, vcc, s0, v17
	v_addc_co_u32_e32 v3, vcc, v4, v3, vcc
	v_cmp_gt_i64_e32 vcc, s[30:31], v[2:3]
	v_mov_b32_e32 v4, s30
	v_cndmask_b32_e32 v18, v4, v2, vcc
	v_cmp_lt_i32_e32 vcc, v17, v18
	s_and_saveexec_b64 s[0:1], vcc
	s_cbranch_execz .LBB19_59
; %bb.10:
	s_mul_i32 s7, s7, s36
	v_add_u32_e32 v19, s7, v1
	s_bfe_i64 s[0:1], s[36:37], 0x200000
	v_mov_b32_e32 v3, s1
	v_add_co_u32_e32 v1, vcc, s0, v19
	s_load_dwordx4 s[0:3], s[4:5], 0x0
	s_load_dwordx2 s[34:35], s[4:5], 0x70
	s_mul_i32 s4, s27, s40
	s_sub_i32 s4, s6, s4
	s_add_i32 s5, s27, 1
	s_sub_i32 s7, s4, s40
	s_cmp_ge_u32 s4, s40
	s_cselect_b32 s5, s5, s27
	s_cselect_b32 s4, s7, s4
	s_add_i32 s7, s5, 1
	s_cmp_ge_u32 s4, s40
	s_cselect_b32 s8, s7, s5
	s_mul_i32 s5, s30, s29
	s_mul_hi_u32 s7, s30, s28
	v_ashrrev_i32_e32 v2, 31, v19
	s_add_i32 s5, s7, s5
	s_mul_i32 s7, s31, s28
	v_addc_co_u32_e32 v2, vcc, v3, v2, vcc
	s_mul_i32 s4, s8, s40
	s_add_i32 s5, s5, s7
	s_mul_i32 s7, s30, s28
	v_cmp_gt_i64_e32 vcc, s[10:11], v[1:2]
	s_sub_i32 s6, s6, s4
	s_mul_i32 s11, s7, s11
	s_mul_hi_u32 s27, s7, s10
	s_ashr_i32 s4, s6, 31
	s_add_i32 s11, s27, s11
	s_mul_i32 s5, s5, s10
	s_mul_i32 s7, s7, s10
	s_add_i32 s5, s11, s5
	s_mul_i32 s4, s7, s4
	s_mul_hi_u32 s11, s7, s6
	s_mul_i32 s5, s5, s6
	s_add_i32 s4, s11, s4
	s_add_i32 s5, s4, s5
	s_mul_i32 s4, s7, s6
	s_lshl_b64 s[4:5], s[4:5], 2
	s_waitcnt lgkmcnt(0)
	s_add_u32 s11, s34, s4
	s_mul_i32 s4, s13, s12
	s_mul_i32 s4, s4, s6
	s_addc_u32 s57, s35, s5
	s_ashr_i32 s5, s4, 31
	s_mul_i32 s5, s28, s5
	s_mul_hi_u32 s6, s28, s4
	s_add_i32 s5, s6, s5
	s_mul_i32 s6, s29, s4
	s_add_i32 s5, s5, s6
	s_mul_i32 s4, s28, s4
	s_lshl_b64 s[6:7], s[4:5], 3
	s_add_u32 s58, s2, s6
	s_addc_u32 s59, s3, s7
	s_lshl_b64 s[2:3], s[4:5], 2
	s_add_u32 s60, s0, s2
	s_addc_u32 s61, s1, s3
	s_abs_i32 s64, s16
	v_cvt_f32_u32_e32 v2, s64
	v_mov_b32_e32 v3, s10
	s_abs_i32 s66, s17
	v_cndmask_b32_e32 v20, v3, v1, vcc
	v_rcp_iflag_f32_e32 v2, v2
	v_cvt_f32_u32_e32 v3, s66
	s_mul_i32 s0, s8, s9
	v_add_u32_e32 v1, s0, v0
	v_mul_f32_e32 v2, 0x4f7ffffe, v2
	v_rcp_iflag_f32_e32 v3, v3
	v_cvt_u32_f32_e32 v4, v2
	s_add_i32 s0, s14, -1
	s_mul_i32 s62, s20, s0
	s_add_i32 s0, s15, -1
	s_mul_i32 s65, s21, s0
	s_sub_i32 s0, 0, s64
	v_mul_f32_e32 v3, 0x4f7ffffe, v3
	v_mul_lo_u32 v6, s0, v4
	v_cvt_u32_f32_e32 v3, v3
	s_sub_i32 s2, 0, s66
	v_mul_lo_u32 v5, s26, v5
	v_mul_hi_u32 v6, v4, v6
	v_mul_lo_u32 v7, s2, v3
	v_mul_lo_u32 v24, s22, v1
	s_add_i32 s2, s8, s25
	v_add_u32_e32 v21, v4, v6
	v_mul_hi_u32 v4, v3, v7
	v_ashrrev_i32_e32 v2, 31, v1
	s_mul_i32 s2, s2, s9
	v_cmp_gt_i64_e64 s[0:1], s[28:29], v[1:2]
	v_add_u32_e32 v23, v3, v4
	v_mul_lo_u32 v3, v5, s9
	s_mul_i32 s68, s25, s9
	v_add_u32_e32 v25, s2, v0
	v_lshlrev_b32_e32 v0, 2, v0
	v_lshlrev_b32_e32 v3, 2, v3
	s_not_b32 s63, s62
	v_cmp_lt_i32_e32 vcc, v19, v20
	s_not_b32 s67, s65
	s_ashr_i32 s69, s16, 31
	v_mov_b32_e32 v22, 0
	s_ashr_i32 s70, s17, 31
	s_mul_i32 s22, s68, s22
	v_add3_u32 v0, v3, v0, 0
	s_lshl_b32 s25, s9, 2
	s_mov_b64 s[14:15], 0
                                        ; implicit-def: $vgpr26
                                        ; implicit-def: $vgpr27
                                        ; implicit-def: $vgpr28
                                        ; implicit-def: $vgpr29
	s_branch .LBB19_13
.LBB19_11:                              ;   in Loop: Header=BB19_13 Depth=1
	s_or_b64 exec, exec, s[20:21]
.LBB19_12:                              ;   in Loop: Header=BB19_13 Depth=1
	s_or_b64 exec, exec, s[16:17]
	v_add_u32_e32 v17, s33, v17
	v_cmp_ge_i32_e64 s[2:3], v17, v18
	s_or_b64 s[14:15], s[2:3], s[14:15]
	s_andn2_b64 exec, exec, s[14:15]
	s_cbranch_execz .LBB19_59
.LBB19_13:                              ; =>This Loop Header: Depth=1
                                        ;     Child Loop BB19_19 Depth 2
                                        ;       Child Loop BB19_28 Depth 3
                                        ;         Child Loop BB19_31 Depth 4
                                        ;           Child Loop BB19_34 Depth 5
                                        ;       Child Loop BB19_40 Depth 3
                                        ;       Child Loop BB19_51 Depth 3
	;; [unrolled: 1-line block ×3, first 2 shown]
	v_add_u32_e32 v3, s18, v17
	v_cmp_lt_i32_e64 s[2:3], s62, v3
	v_mov_b32_e32 v30, 0
	s_and_saveexec_b64 s[4:5], s[2:3]
	s_cbranch_execz .LBB19_15
; %bb.14:                               ;   in Loop: Header=BB19_13 Depth=1
	v_add_u32_e32 v4, s63, v3
	v_sub_u32_e32 v5, 0, v4
	v_max_i32_e32 v5, v4, v5
	v_mul_hi_u32 v6, v5, v21
	v_ashrrev_i32_e32 v4, 31, v4
	v_xor_b32_e32 v4, s69, v4
	v_mul_lo_u32 v7, v6, s64
	v_add_u32_e32 v8, 1, v6
	v_sub_u32_e32 v5, v5, v7
	v_cmp_le_u32_e64 s[2:3], s64, v5
	v_subrev_u32_e32 v7, s64, v5
	v_cndmask_b32_e64 v6, v6, v8, s[2:3]
	v_cndmask_b32_e64 v5, v5, v7, s[2:3]
	v_add_u32_e32 v7, 1, v6
	v_cmp_le_u32_e64 s[2:3], s64, v5
	v_cndmask_b32_e64 v5, v6, v7, s[2:3]
	v_xor_b32_e32 v5, v5, v4
	v_sub_u32_e32 v4, v5, v4
	v_add_u32_e32 v30, 1, v4
.LBB19_15:                              ;   in Loop: Header=BB19_13 Depth=1
	s_or_b64 exec, exec, s[4:5]
	s_and_saveexec_b64 s[16:17], vcc
	s_cbranch_execz .LBB19_12
; %bb.16:                               ;   in Loop: Header=BB19_13 Depth=1
	v_sub_u32_e32 v4, 0, v3
	v_max_i32_e32 v4, v3, v4
	v_mul_hi_u32 v5, v4, v21
	v_ashrrev_i32_e32 v3, 31, v3
	v_xor_b32_e32 v3, s69, v3
	v_add_u32_e32 v8, 1, v30
	v_mul_lo_u32 v6, v5, s64
	v_add_u32_e32 v7, 1, v5
	v_mul_lo_u32 v32, v17, s10
	v_mul_lo_u32 v35, s23, v8
	v_sub_u32_e32 v4, v4, v6
	v_cmp_le_u32_e64 s[2:3], s64, v4
	v_subrev_u32_e32 v6, s64, v4
	v_cndmask_b32_e64 v5, v5, v7, s[2:3]
	v_cndmask_b32_e64 v4, v4, v6, s[2:3]
	v_add_u32_e32 v6, 1, v5
	v_cmp_le_u32_e64 s[2:3], s64, v4
	v_cndmask_b32_e64 v4, v5, v6, s[2:3]
	v_xor_b32_e32 v4, v4, v3
	v_sub_u32_e32 v3, v4, v3
	v_add_u32_e32 v3, 1, v3
	v_min_i32_e32 v31, s12, v3
	v_mul_lo_u32 v3, v30, s23
	v_sub_u32_e32 v4, v31, v30
	v_cmp_gt_i32_e64 s[8:9], 3, v4
	v_mov_b32_e32 v6, s59
	v_ashrrev_i32_e32 v4, 31, v3
	v_lshlrev_b64 v[4:5], 3, v[3:4]
	v_cmp_eq_u32_e64 s[6:7], v8, v31
	v_add_co_u32_e64 v33, s[4:5], s58, v4
	v_addc_co_u32_e64 v34, s[4:5], v6, v5, s[4:5]
	v_add_u32_e32 v6, s23, v3
	v_ashrrev_i32_e32 v7, 31, v6
	v_lshlrev_b64 v[6:7], 3, v[6:7]
	v_cmp_gt_i32_e64 s[2:3], v31, v30
	v_cmp_lt_i32_e64 s[4:5], v8, v31
	s_mov_b64 s[20:21], 0
	s_xor_b64 s[26:27], s[6:7], -1
	s_xor_b64 s[30:31], s[8:9], -1
	v_mov_b32_e32 v36, v19
	s_branch .LBB19_19
.LBB19_17:                              ;   in Loop: Header=BB19_19 Depth=2
	s_or_b64 exec, exec, s[34:35]
.LBB19_18:                              ;   in Loop: Header=BB19_19 Depth=2
	s_or_b64 exec, exec, s[8:9]
	v_add_u32_e32 v36, s56, v36
	v_cmp_ge_i32_e64 s[6:7], v36, v20
	s_or_b64 s[20:21], s[6:7], s[20:21]
	s_andn2_b64 exec, exec, s[20:21]
	s_cbranch_execz .LBB19_11
.LBB19_19:                              ;   Parent Loop BB19_13 Depth=1
                                        ; =>  This Loop Header: Depth=2
                                        ;       Child Loop BB19_28 Depth 3
                                        ;         Child Loop BB19_31 Depth 4
                                        ;           Child Loop BB19_34 Depth 5
                                        ;       Child Loop BB19_40 Depth 3
                                        ;       Child Loop BB19_51 Depth 3
	;; [unrolled: 1-line block ×3, first 2 shown]
	v_add_u32_e32 v8, s19, v36
	v_cmp_lt_i32_e64 s[6:7], s65, v8
	v_mov_b32_e32 v15, 0
	s_and_saveexec_b64 s[8:9], s[6:7]
	s_cbranch_execz .LBB19_21
; %bb.20:                               ;   in Loop: Header=BB19_19 Depth=2
	v_add_u32_e32 v9, s67, v8
	v_sub_u32_e32 v10, 0, v9
	v_max_i32_e32 v10, v9, v10
	v_mul_hi_u32 v11, v10, v23
	v_ashrrev_i32_e32 v9, 31, v9
	v_xor_b32_e32 v9, s70, v9
	v_mul_lo_u32 v12, v11, s66
	v_add_u32_e32 v13, 1, v11
	v_sub_u32_e32 v10, v10, v12
	v_cmp_le_u32_e64 s[6:7], s66, v10
	v_subrev_u32_e32 v12, s66, v10
	v_cndmask_b32_e64 v11, v11, v13, s[6:7]
	v_cndmask_b32_e64 v10, v10, v12, s[6:7]
	v_add_u32_e32 v12, 1, v11
	v_cmp_le_u32_e64 s[6:7], s66, v10
	v_cndmask_b32_e64 v10, v11, v12, s[6:7]
	v_xor_b32_e32 v10, v10, v9
	v_sub_u32_e32 v9, v10, v9
	v_add_u32_e32 v15, 1, v9
.LBB19_21:                              ;   in Loop: Header=BB19_19 Depth=2
	s_or_b64 exec, exec, s[8:9]
	v_sub_u32_e32 v9, 0, v8
	v_max_i32_e32 v9, v8, v9
	v_mul_hi_u32 v10, v9, v23
	v_ashrrev_i32_e32 v8, 31, v8
	v_xor_b32_e32 v8, s70, v8
	v_mul_lo_u32 v11, v10, s66
	v_add_u32_e32 v12, 1, v10
	v_sub_u32_e32 v9, v9, v11
	v_cmp_le_u32_e64 s[6:7], s66, v9
	v_subrev_u32_e32 v11, s66, v9
	v_cndmask_b32_e64 v10, v10, v12, s[6:7]
	v_cndmask_b32_e64 v9, v9, v11, s[6:7]
	v_add_u32_e32 v11, 1, v10
	v_cmp_le_u32_e64 s[6:7], s66, v9
	v_cndmask_b32_e64 v9, v10, v11, s[6:7]
	v_xor_b32_e32 v9, v9, v8
	v_sub_u32_e32 v8, v9, v8
	v_add_u32_e32 v8, 1, v8
	v_min_i32_e32 v16, s13, v8
	v_add_u32_e32 v9, 1, v15
	v_cmp_ne_u32_e64 s[6:7], v9, v16
	v_add_u32_e32 v8, v36, v32
	s_or_b64 s[6:7], s[26:27], s[6:7]
	s_and_saveexec_b64 s[8:9], s[6:7]
	s_xor_b64 s[34:35], exec, s[8:9]
	s_cbranch_execz .LBB19_53
; %bb.22:                               ;   in Loop: Header=BB19_19 Depth=2
	v_sub_u32_e32 v10, v16, v15
	v_cmp_lt_i32_e64 s[6:7], 2, v10
	s_or_b64 s[6:7], s[30:31], s[6:7]
	s_and_saveexec_b64 s[8:9], s[6:7]
	s_xor_b64 s[36:37], exec, s[8:9]
	s_cbranch_execnz .LBB19_25
; %bb.23:                               ;   in Loop: Header=BB19_19 Depth=2
	s_andn2_saveexec_b64 s[36:37], s[36:37]
	s_cbranch_execnz .LBB19_37
.LBB19_24:                              ;   in Loop: Header=BB19_19 Depth=2
	s_or_b64 exec, exec, s[36:37]
	s_and_saveexec_b64 s[36:37], s[0:1]
	s_cbranch_execnz .LBB19_50
	s_branch .LBB19_52
.LBB19_25:                              ;   in Loop: Header=BB19_19 Depth=2
	s_and_saveexec_b64 s[38:39], s[2:3]
	s_cbranch_execz .LBB19_36
; %bb.26:                               ;   in Loop: Header=BB19_19 Depth=2
	v_mad_u64_u32 v[10:11], s[8:9], s24, v15, v[3:4]
	v_cmp_gt_i32_e64 s[6:7], v16, v15
	v_ashrrev_i32_e32 v9, 31, v8
	s_mov_b64 s[40:41], 0
	v_mov_b32_e32 v37, v30
	s_branch .LBB19_28
.LBB19_27:                              ;   in Loop: Header=BB19_28 Depth=3
	s_or_b64 exec, exec, s[42:43]
	v_add_u32_e32 v37, 1, v37
	v_cmp_ge_i32_e64 s[8:9], v37, v31
	s_or_b64 s[40:41], s[8:9], s[40:41]
	v_add_u32_e32 v10, s23, v10
	s_andn2_b64 exec, exec, s[40:41]
	s_cbranch_execz .LBB19_36
.LBB19_28:                              ;   Parent Loop BB19_13 Depth=1
                                        ;     Parent Loop BB19_19 Depth=2
                                        ; =>    This Loop Header: Depth=3
                                        ;         Child Loop BB19_31 Depth 4
                                        ;           Child Loop BB19_34 Depth 5
	s_and_saveexec_b64 s[42:43], s[6:7]
	s_cbranch_execz .LBB19_27
; %bb.29:                               ;   in Loop: Header=BB19_28 Depth=3
	v_mul_lo_u32 v11, v37, s23
	v_mov_b32_e32 v13, s59
	s_mov_b64 s[44:45], 0
	v_mov_b32_e32 v40, v10
	v_ashrrev_i32_e32 v12, 31, v11
	v_lshlrev_b64 v[11:12], 3, v[11:12]
	v_mov_b32_e32 v41, v15
	v_add_co_u32_e64 v38, s[8:9], s58, v11
	v_addc_co_u32_e64 v39, s[8:9], v13, v12, s[8:9]
	s_branch .LBB19_31
.LBB19_30:                              ;   in Loop: Header=BB19_31 Depth=4
	s_or_b64 exec, exec, s[46:47]
	v_add_u32_e32 v41, 1, v41
	v_cmp_ge_i32_e64 s[8:9], v41, v16
	s_or_b64 s[44:45], s[8:9], s[44:45]
	v_add_u32_e32 v40, s24, v40
	s_andn2_b64 exec, exec, s[44:45]
	s_cbranch_execz .LBB19_27
.LBB19_31:                              ;   Parent Loop BB19_13 Depth=1
                                        ;     Parent Loop BB19_19 Depth=2
                                        ;       Parent Loop BB19_28 Depth=3
                                        ; =>      This Loop Header: Depth=4
                                        ;           Child Loop BB19_34 Depth 5
	s_and_saveexec_b64 s[46:47], s[0:1]
	s_cbranch_execz .LBB19_30
; %bb.32:                               ;   in Loop: Header=BB19_31 Depth=4
	v_mul_lo_u32 v11, v41, s24
	s_mov_b64 s[48:49], 0
	v_mov_b32_e32 v44, v0
	v_mov_b32_e32 v13, v24
	v_ashrrev_i32_e32 v12, 31, v11
	v_lshlrev_b64 v[11:12], 3, v[11:12]
	v_add_co_u32_e64 v42, s[8:9], v38, v11
	v_addc_co_u32_e64 v43, s[8:9], v39, v12, s[8:9]
	v_mov_b32_e32 v11, v25
	s_branch .LBB19_34
.LBB19_33:                              ;   in Loop: Header=BB19_34 Depth=5
	s_or_b64 exec, exec, s[50:51]
	v_ashrrev_i32_e32 v12, 31, v11
	v_cmp_le_i64_e64 s[8:9], s[28:29], v[11:12]
	v_add_u32_e32 v13, s22, v13
	v_add_u32_e32 v11, s68, v11
	s_or_b64 s[48:49], s[8:9], s[48:49]
	v_add_u32_e32 v44, s25, v44
	s_andn2_b64 exec, exec, s[48:49]
	s_cbranch_execz .LBB19_30
.LBB19_34:                              ;   Parent Loop BB19_13 Depth=1
                                        ;     Parent Loop BB19_19 Depth=2
                                        ;       Parent Loop BB19_28 Depth=3
                                        ;         Parent Loop BB19_31 Depth=4
                                        ; =>        This Inner Loop Header: Depth=5
	v_ashrrev_i32_e32 v14, 31, v13
	v_lshlrev_b64 v[45:46], 3, v[13:14]
	v_add_co_u32_e64 v45, s[8:9], v42, v45
	v_addc_co_u32_e64 v46, s[8:9], v43, v46, s[8:9]
	global_load_dwordx2 v[45:46], v[45:46], off
	s_waitcnt vmcnt(0)
	v_cmp_eq_u64_e64 s[8:9], v[45:46], v[8:9]
	s_and_saveexec_b64 s[50:51], s[8:9]
	s_cbranch_execz .LBB19_33
; %bb.35:                               ;   in Loop: Header=BB19_34 Depth=5
	v_add_u32_e32 v45, v40, v13
	v_ashrrev_i32_e32 v46, 31, v45
	v_lshlrev_b64 v[45:46], 2, v[45:46]
	v_mov_b32_e32 v12, s61
	v_add_co_u32_e64 v45, s[8:9], s60, v45
	v_addc_co_u32_e64 v46, s[8:9], v12, v46, s[8:9]
	global_load_dword v12, v[45:46], off
	ds_read_b32 v14, v44
	s_waitcnt vmcnt(0) lgkmcnt(0)
	v_add_f32_e32 v12, v12, v14
	ds_write_b32 v44, v12
	s_branch .LBB19_33
.LBB19_36:                              ;   in Loop: Header=BB19_19 Depth=2
	s_or_b64 exec, exec, s[38:39]
                                        ; implicit-def: $vgpr16
                                        ; implicit-def: $vgpr15
                                        ; implicit-def: $vgpr9
	s_andn2_saveexec_b64 s[36:37], s[36:37]
	s_cbranch_execz .LBB19_24
.LBB19_37:                              ;   in Loop: Header=BB19_19 Depth=2
	s_and_saveexec_b64 s[38:39], s[0:1]
	s_cbranch_execz .LBB19_49
; %bb.38:                               ;   in Loop: Header=BB19_19 Depth=2
	v_mul_lo_u32 v10, v15, s24
	v_cmp_gt_i32_e64 s[6:7], v16, v15
	v_cmp_lt_i32_e64 s[8:9], v9, v16
	s_and_b64 s[40:41], s[2:3], s[6:7]
	v_add_u32_e32 v12, s24, v10
	v_ashrrev_i32_e32 v11, 31, v10
	v_ashrrev_i32_e32 v13, 31, v12
	v_add_u32_e32 v37, v35, v12
	v_add_u32_e32 v38, v35, v10
	;; [unrolled: 1-line block ×4, first 2 shown]
	v_lshlrev_b64 v[9:10], 3, v[10:11]
	v_lshlrev_b64 v[11:12], 3, v[12:13]
	s_and_b64 s[42:43], s[2:3], s[8:9]
	s_and_b64 s[44:45], s[4:5], s[6:7]
	;; [unrolled: 1-line block ×3, first 2 shown]
	s_mov_b64 s[46:47], 0
	v_mov_b32_e32 v41, v0
	v_mov_b32_e32 v13, v25
	;; [unrolled: 1-line block ×3, first 2 shown]
	s_branch .LBB19_40
.LBB19_39:                              ;   in Loop: Header=BB19_40 Depth=3
	s_or_b64 exec, exec, s[54:55]
	s_waitcnt vmcnt(0)
	v_add_f32_e32 v14, 0, v29
	v_cndmask_b32_e64 v14, 0, v14, s[48:49]
	v_add_f32_e32 v16, v14, v28
	v_cndmask_b32_e64 v14, v14, v16, s[52:53]
	ds_read_b32 v16, v41
	v_add_f32_e32 v42, v14, v27
	v_cndmask_b32_e64 v14, v14, v42, s[50:51]
	v_add_f32_e32 v42, v14, v26
	v_cndmask_b32_e64 v14, v14, v42, s[6:7]
	s_waitcnt lgkmcnt(0)
	v_add_f32_e32 v14, v14, v16
	ds_write_b32 v41, v14
	v_ashrrev_i32_e32 v14, 31, v13
	v_cmp_le_i64_e64 s[6:7], s[28:29], v[13:14]
	v_add_u32_e32 v15, s22, v15
	v_add_u32_e32 v13, s68, v13
	s_or_b64 s[46:47], s[6:7], s[46:47]
	v_add_u32_e32 v41, s25, v41
	s_andn2_b64 exec, exec, s[46:47]
	s_cbranch_execz .LBB19_48
.LBB19_40:                              ;   Parent Loop BB19_13 Depth=1
                                        ;     Parent Loop BB19_19 Depth=2
                                        ; =>    This Inner Loop Header: Depth=3
	v_ashrrev_i32_e32 v16, 31, v15
	v_lshlrev_b64 v[42:43], 3, v[15:16]
	v_mov_b32_e32 v16, s59
	v_add_co_u32_e64 v14, s[6:7], s58, v42
	v_addc_co_u32_e64 v16, s[6:7], v16, v43, s[6:7]
	v_add_co_u32_e64 v42, s[6:7], v14, v4
	v_addc_co_u32_e64 v43, s[6:7], v16, v5, s[6:7]
	s_mov_b64 s[48:49], 0
	s_and_saveexec_b64 s[50:51], s[40:41]
	s_cbranch_execz .LBB19_42
; %bb.41:                               ;   in Loop: Header=BB19_40 Depth=3
	v_add_co_u32_e64 v44, s[6:7], v42, v9
	v_addc_co_u32_e64 v45, s[6:7], v43, v10, s[6:7]
	global_load_dword v46, v[44:45], off
	v_add_u32_e32 v44, v40, v15
	v_ashrrev_i32_e32 v45, 31, v44
	v_lshlrev_b64 v[44:45], 2, v[44:45]
	v_mov_b32_e32 v29, s61
	v_add_co_u32_e64 v44, s[6:7], s60, v44
	v_addc_co_u32_e64 v45, s[6:7], v29, v45, s[6:7]
	global_load_dword v29, v[44:45], off
	s_waitcnt vmcnt(1)
	v_cmp_eq_u32_e64 s[6:7], v8, v46
	s_and_b64 s[48:49], s[6:7], exec
.LBB19_42:                              ;   in Loop: Header=BB19_40 Depth=3
	s_or_b64 exec, exec, s[50:51]
	s_mov_b64 s[50:51], 0
	s_mov_b64 s[52:53], 0
	s_and_saveexec_b64 s[54:55], s[42:43]
	s_cbranch_execz .LBB19_44
; %bb.43:                               ;   in Loop: Header=BB19_40 Depth=3
	v_add_co_u32_e64 v42, s[6:7], v42, v11
	v_addc_co_u32_e64 v43, s[6:7], v43, v12, s[6:7]
	global_load_dword v44, v[42:43], off
	v_add_u32_e32 v42, v39, v15
	v_ashrrev_i32_e32 v43, 31, v42
	v_lshlrev_b64 v[42:43], 2, v[42:43]
	v_mov_b32_e32 v28, s61
	v_add_co_u32_e64 v42, s[6:7], s60, v42
	v_addc_co_u32_e64 v43, s[6:7], v28, v43, s[6:7]
	global_load_dword v28, v[42:43], off
	s_waitcnt vmcnt(1)
	v_cmp_eq_u32_e64 s[6:7], v8, v44
	s_and_b64 s[52:53], s[6:7], exec
.LBB19_44:                              ;   in Loop: Header=BB19_40 Depth=3
	s_or_b64 exec, exec, s[54:55]
	v_add_co_u32_e64 v14, s[6:7], v14, v6
	v_addc_co_u32_e64 v16, s[6:7], v16, v7, s[6:7]
	s_and_saveexec_b64 s[54:55], s[44:45]
	s_cbranch_execz .LBB19_46
; %bb.45:                               ;   in Loop: Header=BB19_40 Depth=3
	v_add_co_u32_e64 v42, s[6:7], v14, v9
	v_addc_co_u32_e64 v43, s[6:7], v16, v10, s[6:7]
	global_load_dword v44, v[42:43], off
	v_add_u32_e32 v42, v38, v15
	v_ashrrev_i32_e32 v43, 31, v42
	v_lshlrev_b64 v[42:43], 2, v[42:43]
	v_mov_b32_e32 v27, s61
	v_add_co_u32_e64 v42, s[6:7], s60, v42
	v_addc_co_u32_e64 v43, s[6:7], v27, v43, s[6:7]
	global_load_dword v27, v[42:43], off
	s_waitcnt vmcnt(1)
	v_cmp_eq_u32_e64 s[6:7], v8, v44
	s_and_b64 s[50:51], s[6:7], exec
.LBB19_46:                              ;   in Loop: Header=BB19_40 Depth=3
	s_or_b64 exec, exec, s[54:55]
	s_mov_b64 s[6:7], 0
	s_and_saveexec_b64 s[54:55], s[8:9]
	s_cbranch_execz .LBB19_39
; %bb.47:                               ;   in Loop: Header=BB19_40 Depth=3
	v_add_co_u32_e64 v42, s[6:7], v14, v11
	v_addc_co_u32_e64 v43, s[6:7], v16, v12, s[6:7]
	global_load_dword v14, v[42:43], off
	v_add_u32_e32 v42, v37, v15
	v_ashrrev_i32_e32 v43, 31, v42
	v_lshlrev_b64 v[42:43], 2, v[42:43]
	v_mov_b32_e32 v16, s61
	v_add_co_u32_e64 v42, s[6:7], s60, v42
	v_addc_co_u32_e64 v43, s[6:7], v16, v43, s[6:7]
	global_load_dword v26, v[42:43], off
	s_waitcnt vmcnt(1)
	v_cmp_eq_u32_e64 s[6:7], v8, v14
	s_and_b64 s[6:7], s[6:7], exec
	s_branch .LBB19_39
.LBB19_48:                              ;   in Loop: Header=BB19_19 Depth=2
	s_or_b64 exec, exec, s[46:47]
.LBB19_49:                              ;   in Loop: Header=BB19_19 Depth=2
	s_or_b64 exec, exec, s[38:39]
	s_or_b64 exec, exec, s[36:37]
	s_and_saveexec_b64 s[36:37], s[0:1]
	s_cbranch_execz .LBB19_52
.LBB19_50:                              ;   in Loop: Header=BB19_19 Depth=2
	v_ashrrev_i32_e32 v10, 31, v8
	v_mul_lo_u32 v11, s29, v8
	v_mad_u64_u32 v[8:9], s[6:7], s28, v8, 0
	v_mul_lo_u32 v10, s28, v10
	s_mov_b64 s[38:39], 0
	v_mov_b32_e32 v14, v0
	v_add3_u32 v9, v9, v10, v11
	v_lshlrev_b64 v[8:9], 2, v[8:9]
	v_mov_b32_e32 v10, s57
	v_add_co_u32_e64 v12, s[6:7], s11, v8
	v_addc_co_u32_e64 v13, s[6:7], v10, v9, s[6:7]
	v_mov_b32_e32 v11, v2
	v_mov_b32_e32 v8, v25
	;; [unrolled: 1-line block ×3, first 2 shown]
.LBB19_51:                              ;   Parent Loop BB19_13 Depth=1
                                        ;     Parent Loop BB19_19 Depth=2
                                        ; =>    This Inner Loop Header: Depth=3
	ds_read_b32 v37, v14
	v_lshlrev_b64 v[15:16], 2, v[10:11]
	v_ashrrev_i32_e32 v9, 31, v8
	v_cmp_le_i64_e64 s[6:7], s[28:29], v[8:9]
	v_mov_b32_e32 v11, v9
	v_add_co_u32_e64 v15, s[8:9], v12, v15
	ds_write_b32 v14, v22
	v_add_u32_e32 v14, s25, v14
	v_mov_b32_e32 v10, v8
	v_add_u32_e32 v8, s68, v8
	v_addc_co_u32_e64 v16, s[8:9], v13, v16, s[8:9]
	s_or_b64 s[38:39], s[6:7], s[38:39]
	s_waitcnt lgkmcnt(1)
	global_store_dword v[15:16], v37, off
	s_andn2_b64 exec, exec, s[38:39]
	s_cbranch_execnz .LBB19_51
.LBB19_52:                              ;   in Loop: Header=BB19_19 Depth=2
	s_or_b64 exec, exec, s[36:37]
                                        ; implicit-def: $vgpr15
                                        ; implicit-def: $vgpr8
.LBB19_53:                              ;   in Loop: Header=BB19_19 Depth=2
	s_andn2_saveexec_b64 s[8:9], s[34:35]
	s_cbranch_execz .LBB19_18
; %bb.54:                               ;   in Loop: Header=BB19_19 Depth=2
	s_and_saveexec_b64 s[34:35], s[0:1]
	s_cbranch_execz .LBB19_17
; %bb.55:                               ;   in Loop: Header=BB19_19 Depth=2
	v_mul_lo_u32 v10, v15, s24
	v_ashrrev_i32_e32 v9, 31, v8
	v_mul_lo_u32 v15, s29, v8
	v_mul_lo_u32 v38, s28, v9
	v_mad_u64_u32 v[13:14], s[6:7], s28, v8, 0
	v_ashrrev_i32_e32 v11, 31, v10
	v_lshlrev_b64 v[11:12], 3, v[10:11]
	v_add3_u32 v14, v14, v38, v15
	v_add_co_u32_e64 v16, s[6:7], v33, v11
	v_addc_co_u32_e64 v37, s[6:7], v34, v12, s[6:7]
	v_lshlrev_b64 v[11:12], 2, v[13:14]
	v_mov_b32_e32 v13, s57
	v_add_co_u32_e64 v38, s[6:7], s11, v11
	v_mov_b32_e32 v15, v2
	v_addc_co_u32_e64 v39, s[6:7], v13, v12, s[6:7]
	v_add_u32_e32 v40, v10, v3
	s_mov_b64 s[36:37], 0
	v_mov_b32_e32 v10, v25
	v_mov_b32_e32 v12, v24
	;; [unrolled: 1-line block ×3, first 2 shown]
	s_branch .LBB19_57
.LBB19_56:                              ;   in Loop: Header=BB19_57 Depth=3
	s_or_b64 exec, exec, s[38:39]
	v_ashrrev_i32_e32 v11, 31, v10
	v_cmp_le_i64_e64 s[6:7], s[28:29], v[10:11]
	v_mov_b32_e32 v15, v11
	v_mov_b32_e32 v14, v10
	v_add_u32_e32 v12, s22, v12
	s_or_b64 s[36:37], s[6:7], s[36:37]
	v_add_u32_e32 v10, s68, v10
	s_andn2_b64 exec, exec, s[36:37]
	s_cbranch_execz .LBB19_17
.LBB19_57:                              ;   Parent Loop BB19_13 Depth=1
                                        ;     Parent Loop BB19_19 Depth=2
                                        ; =>    This Inner Loop Header: Depth=3
	v_ashrrev_i32_e32 v13, 31, v12
	v_lshlrev_b64 v[41:42], 3, v[12:13]
	v_add_co_u32_e64 v41, s[6:7], v16, v41
	v_addc_co_u32_e64 v42, s[6:7], v37, v42, s[6:7]
	global_load_dwordx2 v[41:42], v[41:42], off
	s_waitcnt vmcnt(0)
	v_cmp_eq_u64_e64 s[6:7], v[41:42], v[8:9]
	s_and_saveexec_b64 s[38:39], s[6:7]
	s_cbranch_execz .LBB19_56
; %bb.58:                               ;   in Loop: Header=BB19_57 Depth=3
	v_add_u32_e32 v41, v40, v12
	v_ashrrev_i32_e32 v42, 31, v41
	v_lshlrev_b64 v[41:42], 2, v[41:42]
	v_mov_b32_e32 v11, s61
	v_add_co_u32_e64 v41, s[6:7], s60, v41
	v_addc_co_u32_e64 v42, s[6:7], v11, v42, s[6:7]
	global_load_dword v11, v[41:42], off
	v_lshlrev_b64 v[13:14], 2, v[14:15]
	v_add_co_u32_e64 v13, s[6:7], v38, v13
	v_addc_co_u32_e64 v14, s[6:7], v39, v14, s[6:7]
	s_waitcnt vmcnt(0)
	global_store_dword v[13:14], v11, off
	s_branch .LBB19_56
.LBB19_59:
	s_endpgm
.LBB19_60:
                                        ; implicit-def: $sgpr2_sgpr3
	s_andn2_b64 vcc, exec, s[34:35]
	s_cbranch_vccz .LBB19_5
	s_branch .LBB19_6
.LBB19_61:
                                        ; implicit-def: $sgpr36_sgpr37
	s_andn2_b64 vcc, exec, s[34:35]
	s_cbranch_vccz .LBB19_8
	s_branch .LBB19_9
	.section	.rodata,"a",@progbits
	.p2align	6, 0x0
	.amdhsa_kernel _ZN2at6native12_GLOBAL__N_122max_pool_backward_nhwcIffEEvPKT_PKlillliiiiiiiiiiiiiiiPS3_
		.amdhsa_group_segment_fixed_size 0
		.amdhsa_private_segment_fixed_size 0
		.amdhsa_kernarg_size 376
		.amdhsa_user_sgpr_count 6
		.amdhsa_user_sgpr_private_segment_buffer 1
		.amdhsa_user_sgpr_dispatch_ptr 0
		.amdhsa_user_sgpr_queue_ptr 0
		.amdhsa_user_sgpr_kernarg_segment_ptr 1
		.amdhsa_user_sgpr_dispatch_id 0
		.amdhsa_user_sgpr_flat_scratch_init 0
		.amdhsa_user_sgpr_private_segment_size 0
		.amdhsa_uses_dynamic_stack 0
		.amdhsa_system_sgpr_private_segment_wavefront_offset 0
		.amdhsa_system_sgpr_workgroup_id_x 1
		.amdhsa_system_sgpr_workgroup_id_y 1
		.amdhsa_system_sgpr_workgroup_id_z 1
		.amdhsa_system_sgpr_workgroup_info 0
		.amdhsa_system_vgpr_workitem_id 2
		.amdhsa_next_free_vgpr 47
		.amdhsa_next_free_sgpr 71
		.amdhsa_reserve_vcc 1
		.amdhsa_reserve_flat_scratch 0
		.amdhsa_float_round_mode_32 0
		.amdhsa_float_round_mode_16_64 0
		.amdhsa_float_denorm_mode_32 3
		.amdhsa_float_denorm_mode_16_64 3
		.amdhsa_dx10_clamp 1
		.amdhsa_ieee_mode 1
		.amdhsa_fp16_overflow 0
		.amdhsa_exception_fp_ieee_invalid_op 0
		.amdhsa_exception_fp_denorm_src 0
		.amdhsa_exception_fp_ieee_div_zero 0
		.amdhsa_exception_fp_ieee_overflow 0
		.amdhsa_exception_fp_ieee_underflow 0
		.amdhsa_exception_fp_ieee_inexact 0
		.amdhsa_exception_int_div_zero 0
	.end_amdhsa_kernel
	.section	.text._ZN2at6native12_GLOBAL__N_122max_pool_backward_nhwcIffEEvPKT_PKlillliiiiiiiiiiiiiiiPS3_,"axG",@progbits,_ZN2at6native12_GLOBAL__N_122max_pool_backward_nhwcIffEEvPKT_PKlillliiiiiiiiiiiiiiiPS3_,comdat
.Lfunc_end19:
	.size	_ZN2at6native12_GLOBAL__N_122max_pool_backward_nhwcIffEEvPKT_PKlillliiiiiiiiiiiiiiiPS3_, .Lfunc_end19-_ZN2at6native12_GLOBAL__N_122max_pool_backward_nhwcIffEEvPKT_PKlillliiiiiiiiiiiiiiiPS3_
                                        ; -- End function
	.set _ZN2at6native12_GLOBAL__N_122max_pool_backward_nhwcIffEEvPKT_PKlillliiiiiiiiiiiiiiiPS3_.num_vgpr, 47
	.set _ZN2at6native12_GLOBAL__N_122max_pool_backward_nhwcIffEEvPKT_PKlillliiiiiiiiiiiiiiiPS3_.num_agpr, 0
	.set _ZN2at6native12_GLOBAL__N_122max_pool_backward_nhwcIffEEvPKT_PKlillliiiiiiiiiiiiiiiPS3_.numbered_sgpr, 71
	.set _ZN2at6native12_GLOBAL__N_122max_pool_backward_nhwcIffEEvPKT_PKlillliiiiiiiiiiiiiiiPS3_.num_named_barrier, 0
	.set _ZN2at6native12_GLOBAL__N_122max_pool_backward_nhwcIffEEvPKT_PKlillliiiiiiiiiiiiiiiPS3_.private_seg_size, 0
	.set _ZN2at6native12_GLOBAL__N_122max_pool_backward_nhwcIffEEvPKT_PKlillliiiiiiiiiiiiiiiPS3_.uses_vcc, 1
	.set _ZN2at6native12_GLOBAL__N_122max_pool_backward_nhwcIffEEvPKT_PKlillliiiiiiiiiiiiiiiPS3_.uses_flat_scratch, 0
	.set _ZN2at6native12_GLOBAL__N_122max_pool_backward_nhwcIffEEvPKT_PKlillliiiiiiiiiiiiiiiPS3_.has_dyn_sized_stack, 0
	.set _ZN2at6native12_GLOBAL__N_122max_pool_backward_nhwcIffEEvPKT_PKlillliiiiiiiiiiiiiiiPS3_.has_recursion, 0
	.set _ZN2at6native12_GLOBAL__N_122max_pool_backward_nhwcIffEEvPKT_PKlillliiiiiiiiiiiiiiiPS3_.has_indirect_call, 0
	.section	.AMDGPU.csdata,"",@progbits
; Kernel info:
; codeLenInByte = 4508
; TotalNumSgprs: 75
; NumVgprs: 47
; ScratchSize: 0
; MemoryBound: 0
; FloatMode: 240
; IeeeMode: 1
; LDSByteSize: 0 bytes/workgroup (compile time only)
; SGPRBlocks: 9
; VGPRBlocks: 11
; NumSGPRsForWavesPerEU: 75
; NumVGPRsForWavesPerEU: 47
; Occupancy: 5
; WaveLimiterHint : 0
; COMPUTE_PGM_RSRC2:SCRATCH_EN: 0
; COMPUTE_PGM_RSRC2:USER_SGPR: 6
; COMPUTE_PGM_RSRC2:TRAP_HANDLER: 0
; COMPUTE_PGM_RSRC2:TGID_X_EN: 1
; COMPUTE_PGM_RSRC2:TGID_Y_EN: 1
; COMPUTE_PGM_RSRC2:TGID_Z_EN: 1
; COMPUTE_PGM_RSRC2:TIDIG_COMP_CNT: 2
	.section	.text._ZN2at6native12_GLOBAL__N_122max_pool_backward_nchwIffiEEvPKT_PKlT1_S8_S8_S8_S8_S8_iiiiiiiiPS3_,"axG",@progbits,_ZN2at6native12_GLOBAL__N_122max_pool_backward_nchwIffiEEvPKT_PKlT1_S8_S8_S8_S8_S8_iiiiiiiiPS3_,comdat
	.globl	_ZN2at6native12_GLOBAL__N_122max_pool_backward_nchwIffiEEvPKT_PKlT1_S8_S8_S8_S8_S8_iiiiiiiiPS3_ ; -- Begin function _ZN2at6native12_GLOBAL__N_122max_pool_backward_nchwIffiEEvPKT_PKlT1_S8_S8_S8_S8_S8_iiiiiiiiPS3_
	.p2align	8
	.type	_ZN2at6native12_GLOBAL__N_122max_pool_backward_nchwIffiEEvPKT_PKlT1_S8_S8_S8_S8_S8_iiiiiiiiPS3_,@function
_ZN2at6native12_GLOBAL__N_122max_pool_backward_nchwIffiEEvPKT_PKlT1_S8_S8_S8_S8_S8_iiiiiiiiPS3_: ; @_ZN2at6native12_GLOBAL__N_122max_pool_backward_nchwIffiEEvPKT_PKlT1_S8_S8_S8_S8_S8_iiiiiiiiPS3_
; %bb.0:
	s_load_dword s0, s[4:5], 0x5c
	s_load_dwordx8 s[12:19], s[4:5], 0x10
	s_add_u32 s10, s4, 0x50
	s_addc_u32 s11, s5, 0
	v_mov_b32_e32 v1, 0
	s_waitcnt lgkmcnt(0)
	s_and_b32 s0, s0, 0xffff
	v_mov_b32_e32 v2, s6
	v_mad_u64_u32 v[0:1], s[2:3], s0, v2, v[0:1]
	s_mul_i32 s28, s15, s14
	s_ashr_i32 s29, s28, 31
	v_cmp_gt_i64_e32 vcc, s[28:29], v[0:1]
	s_and_saveexec_b64 s[2:3], vcc
	s_cbranch_execz .LBB20_23
; %bb.1:
	s_load_dwordx8 s[20:27], s[4:5], 0x30
	s_add_i32 s1, s18, -1
	s_add_i32 s2, s19, -1
	s_mul_i32 s52, s17, s16
	s_mul_i32 s53, s52, s13
	s_waitcnt lgkmcnt(0)
	s_mul_i32 s6, s24, s1
	s_mul_i32 s9, s25, s2
	s_not_b32 s14, s6
	s_not_b32 s33, s9
	s_cmp_lt_i32 s7, s12
	s_cselect_b64 s[18:19], -1, 0
	s_cmp_lt_i32 s8, s13
	s_cselect_b64 s[30:31], -1, 0
	s_abs_i32 s44, s15
	v_cvt_f32_u32_e32 v2, s44
	s_abs_i32 s45, s20
	v_cvt_f32_u32_e32 v3, s45
	s_abs_i32 s46, s21
	v_rcp_iflag_f32_e32 v2, v2
	v_cvt_f32_u32_e32 v4, s46
	v_rcp_iflag_f32_e32 v3, v3
	s_load_dwordx2 s[34:35], s[4:5], 0x48
	s_load_dword s1, s[10:11], 0x0
	v_mul_f32_e32 v2, 0x4f7ffffe, v2
	v_rcp_iflag_f32_e32 v4, v4
	v_cvt_u32_f32_e32 v2, v2
	v_mul_f32_e32 v3, 0x4f7ffffe, v3
	s_sub_i32 s2, 0, s44
	v_cvt_u32_f32_e32 v3, v3
	v_mul_f32_e32 v4, 0x4f7ffffe, v4
	v_mul_lo_u32 v5, s2, v2
	v_cvt_u32_f32_e32 v4, v4
	s_waitcnt lgkmcnt(0)
	s_mul_i32 s47, s1, s0
	s_sub_i32 s0, 0, s45
	v_mul_lo_u32 v6, s0, v3
	s_sub_i32 s0, 0, s46
	v_mul_hi_u32 v5, v2, v5
	v_mul_lo_u32 v7, s0, v4
	s_load_dwordx4 s[24:27], s[4:5], 0x0
	v_mul_hi_u32 v8, v3, v6
	v_add_u32_e32 v6, v2, v5
	v_mul_hi_u32 v2, v4, v7
	s_mul_i32 s0, s7, s13
	s_add_i32 s0, s8, s0
	s_ashr_i32 s48, s15, 31
	s_ashr_i32 s49, s20, 31
	v_add_u32_e32 v7, v3, v8
	s_ashr_i32 s50, s21, 31
	v_add_u32_e32 v8, v4, v2
	s_mul_i32 s51, s16, s0
	s_mov_b64 s[4:5], 0
	s_branch .LBB20_3
.LBB20_2:                               ;   in Loop: Header=BB20_3 Depth=1
	v_add_co_u32_e32 v0, vcc, s47, v0
	v_addc_co_u32_e32 v1, vcc, 0, v1, vcc
	v_cmp_le_i64_e32 vcc, s[28:29], v[0:1]
	s_or_b64 s[4:5], vcc, s[4:5]
	s_andn2_b64 exec, exec, s[4:5]
	s_cbranch_execz .LBB20_23
.LBB20_3:                               ; =>This Loop Header: Depth=1
                                        ;     Child Loop BB20_10 Depth 2
                                        ;       Child Loop BB20_14 Depth 3
                                        ;         Child Loop BB20_18 Depth 4
                                        ;           Child Loop BB20_21 Depth 5
	v_sub_u32_e32 v2, 0, v0
	v_max_i32_e32 v3, v0, v2
	v_mul_hi_u32 v4, v3, v6
	v_ashrrev_i32_e32 v5, 31, v0
	v_xor_b32_e32 v5, s48, v5
	v_mov_b32_e32 v2, 0
	v_mul_lo_u32 v9, v4, s44
	v_add_u32_e32 v10, 1, v4
	v_sub_u32_e32 v3, v3, v9
	v_cmp_le_u32_e32 vcc, s44, v3
	v_subrev_u32_e32 v9, s44, v3
	v_cndmask_b32_e32 v4, v4, v10, vcc
	v_cndmask_b32_e32 v3, v3, v9, vcc
	v_add_u32_e32 v9, 1, v4
	v_cmp_le_u32_e32 vcc, s44, v3
	v_cndmask_b32_e32 v3, v4, v9, vcc
	v_xor_b32_e32 v3, v3, v5
	v_sub_u32_e32 v4, v3, v5
	v_add_u32_e32 v3, s22, v4
	v_cmp_lt_i32_e32 vcc, s6, v3
	v_mov_b32_e32 v9, 0
	s_and_saveexec_b64 s[0:1], vcc
	s_cbranch_execz .LBB20_5
; %bb.4:                                ;   in Loop: Header=BB20_3 Depth=1
	v_add_u32_e32 v5, s14, v3
	v_sub_u32_e32 v9, 0, v5
	v_max_i32_e32 v9, v5, v9
	v_mul_hi_u32 v10, v9, v7
	v_ashrrev_i32_e32 v5, 31, v5
	v_xor_b32_e32 v5, s49, v5
	v_mul_lo_u32 v11, v10, s45
	v_add_u32_e32 v12, 1, v10
	v_sub_u32_e32 v9, v9, v11
	v_cmp_le_u32_e32 vcc, s45, v9
	v_subrev_u32_e32 v11, s45, v9
	v_cndmask_b32_e32 v10, v10, v12, vcc
	v_cndmask_b32_e32 v9, v9, v11, vcc
	v_add_u32_e32 v11, 1, v10
	v_cmp_le_u32_e32 vcc, s45, v9
	v_cndmask_b32_e32 v9, v10, v11, vcc
	v_xor_b32_e32 v9, v9, v5
	v_sub_u32_e32 v5, v9, v5
	v_add_u32_e32 v9, 1, v5
.LBB20_5:                               ;   in Loop: Header=BB20_3 Depth=1
	s_or_b64 exec, exec, s[0:1]
	v_mul_lo_u32 v4, v4, s15
	v_sub_u32_e32 v4, v0, v4
	v_add_u32_e32 v4, s23, v4
	v_cmp_lt_i32_e32 vcc, s9, v4
	s_and_saveexec_b64 s[0:1], vcc
	s_cbranch_execz .LBB20_7
; %bb.6:                                ;   in Loop: Header=BB20_3 Depth=1
	v_add_u32_e32 v2, s33, v4
	v_sub_u32_e32 v5, 0, v2
	v_max_i32_e32 v5, v2, v5
	v_mul_hi_u32 v10, v5, v8
	v_ashrrev_i32_e32 v2, 31, v2
	v_xor_b32_e32 v2, s50, v2
	v_mul_lo_u32 v11, v10, s46
	v_add_u32_e32 v12, 1, v10
	v_sub_u32_e32 v5, v5, v11
	v_cmp_le_u32_e32 vcc, s46, v5
	v_subrev_u32_e32 v11, s46, v5
	v_cndmask_b32_e32 v10, v10, v12, vcc
	v_cndmask_b32_e32 v5, v5, v11, vcc
	v_add_u32_e32 v11, 1, v10
	v_cmp_le_u32_e32 vcc, s46, v5
	v_cndmask_b32_e32 v5, v10, v11, vcc
	v_xor_b32_e32 v5, v5, v2
	v_sub_u32_e32 v2, v5, v2
	v_add_u32_e32 v2, 1, v2
.LBB20_7:                               ;   in Loop: Header=BB20_3 Depth=1
	s_or_b64 exec, exec, s[0:1]
	s_andn2_b64 vcc, exec, s[18:19]
	s_cbranch_vccnz .LBB20_2
; %bb.8:                                ;   in Loop: Header=BB20_3 Depth=1
	v_sub_u32_e32 v5, 0, v4
	v_max_i32_e32 v5, v4, v5
	v_mul_hi_u32 v10, v5, v8
	v_ashrrev_i32_e32 v4, 31, v4
	v_xor_b32_e32 v4, s50, v4
	s_load_dword s54, s[10:11], 0x4
	v_mul_lo_u32 v11, v10, s46
	v_add_u32_e32 v12, 1, v10
	s_mov_b32 s56, s7
	s_waitcnt lgkmcnt(0)
	s_mul_i32 s55, s53, s54
	v_sub_u32_e32 v5, v5, v11
	v_cmp_le_u32_e32 vcc, s46, v5
	v_subrev_u32_e32 v11, s46, v5
	v_cndmask_b32_e32 v10, v10, v12, vcc
	v_cndmask_b32_e32 v5, v5, v11, vcc
	v_add_u32_e32 v11, 1, v10
	v_cmp_le_u32_e32 vcc, s46, v5
	v_cndmask_b32_e32 v5, v10, v11, vcc
	v_sub_u32_e32 v10, 0, v3
	v_max_i32_e32 v11, v3, v10
	v_mul_hi_u32 v12, v11, v7
	v_xor_b32_e32 v5, v5, v4
	v_sub_u32_e32 v4, v5, v4
	v_add_u32_e32 v4, 1, v4
	v_mul_lo_u32 v5, v12, s45
	v_min_i32_e32 v10, s17, v4
	v_ashrrev_i32_e32 v3, 31, v3
	v_xor_b32_e32 v3, s49, v3
	v_sub_u32_e32 v4, v11, v5
	v_add_u32_e32 v5, 1, v12
	v_cmp_le_u32_e32 vcc, s45, v4
	v_subrev_u32_e32 v11, s45, v4
	v_cndmask_b32_e32 v5, v12, v5, vcc
	v_cndmask_b32_e32 v4, v4, v11, vcc
	v_add_u32_e32 v11, 1, v5
	v_cmp_le_u32_e32 vcc, s45, v4
	v_cndmask_b32_e32 v4, v5, v11, vcc
	v_xor_b32_e32 v4, v4, v3
	v_sub_u32_e32 v3, v4, v3
	v_add_u32_e32 v3, 1, v3
	v_min_i32_e32 v11, s16, v3
	v_add_u32_e32 v3, s51, v9
	v_mad_u64_u32 v[3:4], s[2:3], s17, v3, v[2:3]
	v_cmp_lt_i32_e64 s[0:1], v9, v11
	v_cmp_lt_i32_e64 s[2:3], v2, v10
	s_branch .LBB20_10
.LBB20_9:                               ;   in Loop: Header=BB20_10 Depth=2
	s_add_i32 s56, s54, s56
	s_cmp_ge_i32 s56, s12
	v_add_u32_e32 v3, s55, v3
	s_cbranch_scc1 .LBB20_2
.LBB20_10:                              ;   Parent Loop BB20_3 Depth=1
                                        ; =>  This Loop Header: Depth=2
                                        ;       Child Loop BB20_14 Depth 3
                                        ;         Child Loop BB20_18 Depth 4
                                        ;           Child Loop BB20_21 Depth 5
	s_andn2_b64 vcc, exec, s[30:31]
	s_cbranch_vccnz .LBB20_9
; %bb.11:                               ;   in Loop: Header=BB20_10 Depth=2
	s_load_dword s57, s[10:11], 0x8
	s_mul_i32 s58, s56, s13
	v_mov_b32_e32 v12, v3
	s_mov_b32 s60, s8
	s_waitcnt lgkmcnt(0)
	s_mul_i32 s59, s52, s57
	s_branch .LBB20_14
.LBB20_12:                              ;   in Loop: Header=BB20_14 Depth=3
	s_or_b64 exec, exec, s[36:37]
.LBB20_13:                              ;   in Loop: Header=BB20_14 Depth=3
	s_or_b64 exec, exec, s[20:21]
	s_add_i32 s20, s60, s58
	s_mul_i32 s20, s28, s20
	v_add_u32_e32 v4, s20, v0
	v_ashrrev_i32_e32 v5, 31, v4
	v_lshlrev_b64 v[4:5], 2, v[4:5]
	v_mov_b32_e32 v14, s35
	v_add_co_u32_e32 v4, vcc, s34, v4
	s_add_i32 s60, s57, s60
	v_addc_co_u32_e32 v5, vcc, v14, v5, vcc
	s_cmp_ge_i32 s60, s13
	v_add_u32_e32 v12, s59, v12
	global_store_dword v[4:5], v13, off
	s_cbranch_scc1 .LBB20_9
.LBB20_14:                              ;   Parent Loop BB20_3 Depth=1
                                        ;     Parent Loop BB20_10 Depth=2
                                        ; =>    This Loop Header: Depth=3
                                        ;         Child Loop BB20_18 Depth 4
                                        ;           Child Loop BB20_21 Depth 5
	v_mov_b32_e32 v13, 0
	s_and_saveexec_b64 s[20:21], s[0:1]
	s_cbranch_execz .LBB20_13
; %bb.15:                               ;   in Loop: Header=BB20_14 Depth=3
	v_mov_b32_e32 v13, 0
	s_mov_b64 s[36:37], 0
	v_mov_b32_e32 v14, v12
	v_mov_b32_e32 v15, v9
	s_branch .LBB20_18
.LBB20_16:                              ;   in Loop: Header=BB20_18 Depth=4
	s_or_b64 exec, exec, s[40:41]
.LBB20_17:                              ;   in Loop: Header=BB20_18 Depth=4
	s_or_b64 exec, exec, s[38:39]
	v_add_u32_e32 v15, 1, v15
	v_cmp_ge_i32_e32 vcc, v15, v11
	s_or_b64 s[36:37], vcc, s[36:37]
	v_add_u32_e32 v14, s17, v14
	s_andn2_b64 exec, exec, s[36:37]
	s_cbranch_execz .LBB20_12
.LBB20_18:                              ;   Parent Loop BB20_3 Depth=1
                                        ;     Parent Loop BB20_10 Depth=2
                                        ;       Parent Loop BB20_14 Depth=3
                                        ; =>      This Loop Header: Depth=4
                                        ;           Child Loop BB20_21 Depth 5
	s_and_saveexec_b64 s[38:39], s[2:3]
	s_cbranch_execz .LBB20_17
; %bb.19:                               ;   in Loop: Header=BB20_18 Depth=4
	s_mov_b64 s[40:41], 0
	v_mov_b32_e32 v4, v14
	v_mov_b32_e32 v16, v2
	s_branch .LBB20_21
.LBB20_20:                              ;   in Loop: Header=BB20_21 Depth=5
	s_or_b64 exec, exec, s[42:43]
	v_add_u32_e32 v16, 1, v16
	v_cmp_ge_i32_e32 vcc, v16, v10
	s_or_b64 s[40:41], vcc, s[40:41]
	v_add_u32_e32 v4, 1, v4
	s_andn2_b64 exec, exec, s[40:41]
	s_cbranch_execz .LBB20_16
.LBB20_21:                              ;   Parent Loop BB20_3 Depth=1
                                        ;     Parent Loop BB20_10 Depth=2
                                        ;       Parent Loop BB20_14 Depth=3
                                        ;         Parent Loop BB20_18 Depth=4
                                        ; =>        This Inner Loop Header: Depth=5
	v_ashrrev_i32_e32 v5, 31, v4
	v_lshlrev_b64 v[17:18], 3, v[4:5]
	v_mov_b32_e32 v19, s27
	v_add_co_u32_e32 v17, vcc, s26, v17
	v_addc_co_u32_e32 v18, vcc, v19, v18, vcc
	global_load_dwordx2 v[17:18], v[17:18], off
	s_waitcnt vmcnt(0)
	v_cmp_eq_u64_e32 vcc, v[17:18], v[0:1]
	s_and_saveexec_b64 s[42:43], vcc
	s_cbranch_execz .LBB20_20
; %bb.22:                               ;   in Loop: Header=BB20_21 Depth=5
	v_lshlrev_b64 v[17:18], 2, v[4:5]
	v_mov_b32_e32 v5, s25
	v_add_co_u32_e32 v17, vcc, s24, v17
	v_addc_co_u32_e32 v18, vcc, v5, v18, vcc
	global_load_dword v5, v[17:18], off
	s_waitcnt vmcnt(0)
	v_add_f32_e32 v13, v13, v5
	s_branch .LBB20_20
.LBB20_23:
	s_endpgm
	.section	.rodata,"a",@progbits
	.p2align	6, 0x0
	.amdhsa_kernel _ZN2at6native12_GLOBAL__N_122max_pool_backward_nchwIffiEEvPKT_PKlT1_S8_S8_S8_S8_S8_iiiiiiiiPS3_
		.amdhsa_group_segment_fixed_size 0
		.amdhsa_private_segment_fixed_size 0
		.amdhsa_kernarg_size 336
		.amdhsa_user_sgpr_count 6
		.amdhsa_user_sgpr_private_segment_buffer 1
		.amdhsa_user_sgpr_dispatch_ptr 0
		.amdhsa_user_sgpr_queue_ptr 0
		.amdhsa_user_sgpr_kernarg_segment_ptr 1
		.amdhsa_user_sgpr_dispatch_id 0
		.amdhsa_user_sgpr_flat_scratch_init 0
		.amdhsa_user_sgpr_private_segment_size 0
		.amdhsa_uses_dynamic_stack 0
		.amdhsa_system_sgpr_private_segment_wavefront_offset 0
		.amdhsa_system_sgpr_workgroup_id_x 1
		.amdhsa_system_sgpr_workgroup_id_y 1
		.amdhsa_system_sgpr_workgroup_id_z 1
		.amdhsa_system_sgpr_workgroup_info 0
		.amdhsa_system_vgpr_workitem_id 0
		.amdhsa_next_free_vgpr 20
		.amdhsa_next_free_sgpr 61
		.amdhsa_reserve_vcc 1
		.amdhsa_reserve_flat_scratch 0
		.amdhsa_float_round_mode_32 0
		.amdhsa_float_round_mode_16_64 0
		.amdhsa_float_denorm_mode_32 3
		.amdhsa_float_denorm_mode_16_64 3
		.amdhsa_dx10_clamp 1
		.amdhsa_ieee_mode 1
		.amdhsa_fp16_overflow 0
		.amdhsa_exception_fp_ieee_invalid_op 0
		.amdhsa_exception_fp_denorm_src 0
		.amdhsa_exception_fp_ieee_div_zero 0
		.amdhsa_exception_fp_ieee_overflow 0
		.amdhsa_exception_fp_ieee_underflow 0
		.amdhsa_exception_fp_ieee_inexact 0
		.amdhsa_exception_int_div_zero 0
	.end_amdhsa_kernel
	.section	.text._ZN2at6native12_GLOBAL__N_122max_pool_backward_nchwIffiEEvPKT_PKlT1_S8_S8_S8_S8_S8_iiiiiiiiPS3_,"axG",@progbits,_ZN2at6native12_GLOBAL__N_122max_pool_backward_nchwIffiEEvPKT_PKlT1_S8_S8_S8_S8_S8_iiiiiiiiPS3_,comdat
.Lfunc_end20:
	.size	_ZN2at6native12_GLOBAL__N_122max_pool_backward_nchwIffiEEvPKT_PKlT1_S8_S8_S8_S8_S8_iiiiiiiiPS3_, .Lfunc_end20-_ZN2at6native12_GLOBAL__N_122max_pool_backward_nchwIffiEEvPKT_PKlT1_S8_S8_S8_S8_S8_iiiiiiiiPS3_
                                        ; -- End function
	.set _ZN2at6native12_GLOBAL__N_122max_pool_backward_nchwIffiEEvPKT_PKlT1_S8_S8_S8_S8_S8_iiiiiiiiPS3_.num_vgpr, 20
	.set _ZN2at6native12_GLOBAL__N_122max_pool_backward_nchwIffiEEvPKT_PKlT1_S8_S8_S8_S8_S8_iiiiiiiiPS3_.num_agpr, 0
	.set _ZN2at6native12_GLOBAL__N_122max_pool_backward_nchwIffiEEvPKT_PKlT1_S8_S8_S8_S8_S8_iiiiiiiiPS3_.numbered_sgpr, 61
	.set _ZN2at6native12_GLOBAL__N_122max_pool_backward_nchwIffiEEvPKT_PKlT1_S8_S8_S8_S8_S8_iiiiiiiiPS3_.num_named_barrier, 0
	.set _ZN2at6native12_GLOBAL__N_122max_pool_backward_nchwIffiEEvPKT_PKlT1_S8_S8_S8_S8_S8_iiiiiiiiPS3_.private_seg_size, 0
	.set _ZN2at6native12_GLOBAL__N_122max_pool_backward_nchwIffiEEvPKT_PKlT1_S8_S8_S8_S8_S8_iiiiiiiiPS3_.uses_vcc, 1
	.set _ZN2at6native12_GLOBAL__N_122max_pool_backward_nchwIffiEEvPKT_PKlT1_S8_S8_S8_S8_S8_iiiiiiiiPS3_.uses_flat_scratch, 0
	.set _ZN2at6native12_GLOBAL__N_122max_pool_backward_nchwIffiEEvPKT_PKlT1_S8_S8_S8_S8_S8_iiiiiiiiPS3_.has_dyn_sized_stack, 0
	.set _ZN2at6native12_GLOBAL__N_122max_pool_backward_nchwIffiEEvPKT_PKlT1_S8_S8_S8_S8_S8_iiiiiiiiPS3_.has_recursion, 0
	.set _ZN2at6native12_GLOBAL__N_122max_pool_backward_nchwIffiEEvPKT_PKlT1_S8_S8_S8_S8_S8_iiiiiiiiPS3_.has_indirect_call, 0
	.section	.AMDGPU.csdata,"",@progbits
; Kernel info:
; codeLenInByte = 1232
; TotalNumSgprs: 65
; NumVgprs: 20
; ScratchSize: 0
; MemoryBound: 0
; FloatMode: 240
; IeeeMode: 1
; LDSByteSize: 0 bytes/workgroup (compile time only)
; SGPRBlocks: 8
; VGPRBlocks: 4
; NumSGPRsForWavesPerEU: 65
; NumVGPRsForWavesPerEU: 20
; Occupancy: 10
; WaveLimiterHint : 0
; COMPUTE_PGM_RSRC2:SCRATCH_EN: 0
; COMPUTE_PGM_RSRC2:USER_SGPR: 6
; COMPUTE_PGM_RSRC2:TRAP_HANDLER: 0
; COMPUTE_PGM_RSRC2:TGID_X_EN: 1
; COMPUTE_PGM_RSRC2:TGID_Y_EN: 1
; COMPUTE_PGM_RSRC2:TGID_Z_EN: 1
; COMPUTE_PGM_RSRC2:TIDIG_COMP_CNT: 0
	.section	.text._ZN2at6native12_GLOBAL__N_122max_pool_backward_nchwIfflEEvPKT_PKlT1_S8_S8_S8_S8_S8_iiiiiiiiPS3_,"axG",@progbits,_ZN2at6native12_GLOBAL__N_122max_pool_backward_nchwIfflEEvPKT_PKlT1_S8_S8_S8_S8_S8_iiiiiiiiPS3_,comdat
	.globl	_ZN2at6native12_GLOBAL__N_122max_pool_backward_nchwIfflEEvPKT_PKlT1_S8_S8_S8_S8_S8_iiiiiiiiPS3_ ; -- Begin function _ZN2at6native12_GLOBAL__N_122max_pool_backward_nchwIfflEEvPKT_PKlT1_S8_S8_S8_S8_S8_iiiiiiiiPS3_
	.p2align	8
	.type	_ZN2at6native12_GLOBAL__N_122max_pool_backward_nchwIfflEEvPKT_PKlT1_S8_S8_S8_S8_S8_iiiiiiiiPS3_,@function
_ZN2at6native12_GLOBAL__N_122max_pool_backward_nchwIfflEEvPKT_PKlT1_S8_S8_S8_S8_S8_iiiiiiiiPS3_: ; @_ZN2at6native12_GLOBAL__N_122max_pool_backward_nchwIfflEEvPKT_PKlT1_S8_S8_S8_S8_S8_iiiiiiiiPS3_
; %bb.0:
	s_load_dword s0, s[4:5], 0x74
	s_load_dwordx16 s[12:27], s[4:5], 0x0
	s_add_u32 s30, s4, 0x68
	v_mov_b32_e32 v2, 0
	s_mov_b32 s28, s7
	s_addc_u32 s31, s5, 0
	s_waitcnt lgkmcnt(0)
	s_and_b32 s7, s0, 0xffff
	v_mov_b32_e32 v1, v2
	v_mov_b32_e32 v3, s6
	v_mad_u64_u32 v[0:1], s[0:1], s7, v3, v[0:1]
	s_mul_i32 s0, s22, s21
	s_mul_hi_u32 s1, s22, s20
	s_add_i32 s0, s1, s0
	s_mul_i32 s1, s23, s20
	s_add_i32 s21, s0, s1
	s_mul_i32 s20, s22, s20
	v_cmp_gt_i64_e32 vcc, s[20:21], v[0:1]
	s_and_saveexec_b64 s[0:1], vcc
	s_cbranch_execz .LBB21_43
; %bb.1:
	s_load_dwordx8 s[40:47], s[4:5], 0x40
	s_load_dwordx2 s[34:35], s[4:5], 0x60
	s_load_dword s6, s[30:31], 0x0
	s_mul_i32 s4, s19, s28
	s_mul_hi_u32 s5, s18, s28
	s_waitcnt lgkmcnt(0)
	s_add_i32 s0, s40, -1
	s_mul_i32 s0, s46, s0
	s_add_i32 s36, s0, 1
	s_add_i32 s0, s41, -1
	s_mul_i32 s0, s47, s0
	s_add_i32 s38, s0, 1
	s_ashr_i32 s33, s44, 31
	s_ashr_i32 s37, s36, 31
	;; [unrolled: 1-line block ×6, first 2 shown]
	s_add_i32 s5, s5, s4
	s_mul_i32 s4, s18, s28
	s_add_u32 s4, s4, s8
	s_addc_u32 s5, s5, 0
	s_mul_i32 s73, s6, s7
	s_mul_i32 s5, s24, s5
	s_mul_hi_u32 s6, s24, s4
	s_add_i32 s5, s6, s5
	s_mul_i32 s6, s25, s4
	s_add_i32 s74, s5, s6
	s_mul_i32 s75, s24, s4
	s_mul_i32 s4, s26, s25
	s_mul_hi_u32 s5, s26, s24
	s_mov_b32 s29, 0
	v_mov_b32_e32 v3, s28
	s_add_i32 s4, s5, s4
	s_mul_i32 s5, s27, s24
	v_mov_b32_e32 v4, s29
	s_add_i32 s5, s4, s5
	s_mul_i32 s4, s26, s24
	v_cmp_gt_i64_e64 s[0:1], s[16:17], v[3:4]
	s_mov_b32 s9, s29
	v_mov_b32_e32 v3, s8
	s_mul_i32 s6, s4, s19
	s_mul_hi_u32 s7, s4, s18
	v_mov_b32_e32 v4, s9
	s_add_i32 s6, s7, s6
	s_mul_i32 s7, s5, s18
	v_cmp_gt_i64_e64 s[2:3], s[18:19], v[3:4]
	s_add_i32 s7, s6, s7
	s_mul_i32 s6, s4, s18
	s_mov_b32 s66, s44
	s_mov_b32 s68, s42
	;; [unrolled: 1-line block ×4, first 2 shown]
	s_lshl_b64 s[40:41], s[6:7], 3
	s_lshl_b64 s[42:43], s[4:5], 3
	s_lshl_b64 s[44:45], s[26:27], 3
	s_lshl_b64 s[46:47], s[6:7], 2
	s_lshl_b64 s[48:49], s[4:5], 2
	s_lshl_b64 s[50:51], s[26:27], 2
	s_mov_b64 s[52:53], 0
	s_branch .LBB21_3
.LBB21_2:                               ;   in Loop: Header=BB21_3 Depth=1
	v_add_co_u32_e32 v0, vcc, s73, v0
	v_addc_co_u32_e32 v1, vcc, 0, v1, vcc
	v_cmp_le_i64_e32 vcc, s[20:21], v[0:1]
	s_or_b64 s[52:53], vcc, s[52:53]
	s_andn2_b64 exec, exec, s[52:53]
	s_cbranch_execz .LBB21_43
.LBB21_3:                               ; =>This Loop Header: Depth=1
                                        ;     Child Loop BB21_30 Depth 2
                                        ;       Child Loop BB21_34 Depth 3
                                        ;         Child Loop BB21_38 Depth 4
                                        ;           Child Loop BB21_41 Depth 5
	v_or_b32_e32 v3, s23, v1
	v_cmp_ne_u64_e32 vcc, 0, v[2:3]
                                        ; implicit-def: $vgpr6_vgpr7
	s_and_saveexec_b64 s[4:5], vcc
	s_xor_b64 s[6:7], exec, s[4:5]
	s_cbranch_execz .LBB21_5
; %bb.4:                                ;   in Loop: Header=BB21_3 Depth=1
	s_ashr_i32 s10, s23, 31
	s_add_u32 s4, s22, s10
	s_mov_b32 s11, s10
	s_addc_u32 s5, s23, s10
	s_xor_b64 s[54:55], s[4:5], s[10:11]
	v_cvt_f32_u32_e32 v3, s54
	v_cvt_f32_u32_e32 v4, s55
	s_sub_u32 s11, 0, s54
	s_subb_u32 s56, 0, s55
	v_ashrrev_i32_e32 v7, 31, v1
	v_mac_f32_e32 v3, 0x4f800000, v4
	v_rcp_f32_e32 v3, v3
	v_mul_f32_e32 v3, 0x5f7ffffc, v3
	v_mul_f32_e32 v4, 0x2f800000, v3
	v_trunc_f32_e32 v4, v4
	v_mac_f32_e32 v3, 0xcf800000, v4
	v_cvt_u32_f32_e32 v4, v4
	v_cvt_u32_f32_e32 v3, v3
	v_readfirstlane_b32 s57, v4
	v_readfirstlane_b32 s4, v3
	s_mul_i32 s5, s11, s57
	s_mul_hi_u32 s59, s11, s4
	s_mul_i32 s58, s56, s4
	s_add_i32 s5, s59, s5
	s_add_i32 s5, s5, s58
	s_mul_i32 s60, s11, s4
	s_mul_i32 s59, s4, s5
	s_mul_hi_u32 s61, s4, s60
	s_mul_hi_u32 s58, s4, s5
	s_add_u32 s59, s61, s59
	s_addc_u32 s58, 0, s58
	s_mul_hi_u32 s62, s57, s60
	s_mul_i32 s60, s57, s60
	s_add_u32 s59, s59, s60
	s_mul_hi_u32 s61, s57, s5
	s_addc_u32 s58, s58, s62
	s_addc_u32 s59, s61, 0
	s_mul_i32 s5, s57, s5
	s_add_u32 s5, s58, s5
	s_addc_u32 s58, 0, s59
	s_add_u32 s59, s4, s5
	s_cselect_b64 s[4:5], -1, 0
	s_cmp_lg_u64 s[4:5], 0
	s_addc_u32 s57, s57, s58
	s_mul_i32 s4, s11, s57
	s_mul_hi_u32 s5, s11, s59
	s_add_i32 s4, s5, s4
	s_mul_i32 s56, s56, s59
	s_add_i32 s4, s4, s56
	s_mul_i32 s11, s11, s59
	s_mul_hi_u32 s56, s57, s11
	s_mul_i32 s58, s57, s11
	s_mul_i32 s61, s59, s4
	s_mul_hi_u32 s11, s59, s11
	s_mul_hi_u32 s60, s59, s4
	s_add_u32 s11, s11, s61
	s_addc_u32 s60, 0, s60
	s_add_u32 s11, s11, s58
	s_mul_hi_u32 s5, s57, s4
	s_addc_u32 s11, s60, s56
	s_addc_u32 s5, s5, 0
	s_mul_i32 s4, s57, s4
	s_add_u32 s4, s11, s4
	s_addc_u32 s11, 0, s5
	s_add_u32 s56, s59, s4
	s_cselect_b64 s[4:5], -1, 0
	s_cmp_lg_u64 s[4:5], 0
	v_add_co_u32_e32 v3, vcc, v0, v7
	s_addc_u32 s11, s57, s11
	v_xor_b32_e32 v8, v3, v7
	v_mad_u64_u32 v[3:4], s[4:5], v8, s11, 0
	v_mul_hi_u32 v6, v8, s56
	v_addc_co_u32_e32 v5, vcc, v1, v7, vcc
	v_xor_b32_e32 v9, v5, v7
	v_add_co_u32_e32 v10, vcc, v6, v3
	v_addc_co_u32_e32 v11, vcc, 0, v4, vcc
	v_mad_u64_u32 v[3:4], s[4:5], v9, s56, 0
	v_mad_u64_u32 v[5:6], s[4:5], v9, s11, 0
	v_add_co_u32_e32 v3, vcc, v10, v3
	v_addc_co_u32_e32 v3, vcc, v11, v4, vcc
	v_addc_co_u32_e32 v4, vcc, 0, v6, vcc
	v_add_co_u32_e32 v5, vcc, v3, v5
	v_addc_co_u32_e32 v6, vcc, 0, v4, vcc
	v_mul_lo_u32 v10, s55, v5
	v_mul_lo_u32 v11, s54, v6
	v_mad_u64_u32 v[3:4], s[4:5], s54, v5, 0
	v_add3_u32 v4, v4, v11, v10
	v_sub_u32_e32 v10, v9, v4
	v_mov_b32_e32 v11, s55
	v_sub_co_u32_e32 v3, vcc, v8, v3
	v_subb_co_u32_e64 v8, s[4:5], v10, v11, vcc
	v_subrev_co_u32_e64 v10, s[4:5], s54, v3
	v_subbrev_co_u32_e64 v8, s[4:5], 0, v8, s[4:5]
	v_cmp_le_u32_e64 s[4:5], s55, v8
	v_cndmask_b32_e64 v11, 0, -1, s[4:5]
	v_cmp_le_u32_e64 s[4:5], s54, v10
	v_cndmask_b32_e64 v10, 0, -1, s[4:5]
	v_cmp_eq_u32_e64 s[4:5], s55, v8
	v_cndmask_b32_e64 v8, v11, v10, s[4:5]
	v_add_co_u32_e64 v10, s[4:5], 2, v5
	v_subb_co_u32_e32 v4, vcc, v9, v4, vcc
	v_addc_co_u32_e64 v11, s[4:5], 0, v6, s[4:5]
	v_cmp_le_u32_e32 vcc, s55, v4
	v_add_co_u32_e64 v12, s[4:5], 1, v5
	v_cndmask_b32_e64 v9, 0, -1, vcc
	v_cmp_le_u32_e32 vcc, s54, v3
	v_addc_co_u32_e64 v13, s[4:5], 0, v6, s[4:5]
	v_cndmask_b32_e64 v3, 0, -1, vcc
	v_cmp_eq_u32_e32 vcc, s55, v4
	v_cmp_ne_u32_e64 s[4:5], 0, v8
	v_cndmask_b32_e32 v3, v9, v3, vcc
	v_cmp_ne_u32_e32 vcc, 0, v3
	v_cndmask_b32_e64 v4, v12, v10, s[4:5]
	v_cndmask_b32_e64 v8, v13, v11, s[4:5]
	v_cndmask_b32_e32 v4, v5, v4, vcc
	v_xor_b32_e32 v5, s10, v7
	v_cndmask_b32_e32 v3, v6, v8, vcc
	v_xor_b32_e32 v4, v4, v5
	v_xor_b32_e32 v3, v3, v5
	v_sub_co_u32_e32 v6, vcc, v4, v5
	v_subb_co_u32_e32 v7, vcc, v3, v5, vcc
.LBB21_5:                               ;   in Loop: Header=BB21_3 Depth=1
	s_andn2_saveexec_b64 s[4:5], s[6:7]
	s_cbranch_execz .LBB21_7
; %bb.6:                                ;   in Loop: Header=BB21_3 Depth=1
	v_cvt_f32_u32_e32 v3, s22
	s_sub_i32 s6, 0, s22
	v_mov_b32_e32 v7, v2
	v_rcp_iflag_f32_e32 v3, v3
	v_mul_f32_e32 v3, 0x4f7ffffe, v3
	v_cvt_u32_f32_e32 v3, v3
	v_mul_lo_u32 v4, s6, v3
	v_mul_hi_u32 v4, v3, v4
	v_add_u32_e32 v3, v3, v4
	v_mul_hi_u32 v3, v0, v3
	v_mul_lo_u32 v4, v3, s22
	v_add_u32_e32 v5, 1, v3
	v_sub_u32_e32 v4, v0, v4
	v_subrev_u32_e32 v6, s22, v4
	v_cmp_le_u32_e32 vcc, s22, v4
	v_cndmask_b32_e32 v4, v4, v6, vcc
	v_cndmask_b32_e32 v3, v3, v5, vcc
	v_add_u32_e32 v5, 1, v3
	v_cmp_le_u32_e32 vcc, s22, v4
	v_cndmask_b32_e32 v6, v3, v5, vcc
.LBB21_7:                               ;   in Loop: Header=BB21_3 Depth=1
	s_or_b64 exec, exec, s[4:5]
	v_mov_b32_e32 v3, s33
	v_add_co_u32_e32 v10, vcc, s66, v6
	v_addc_co_u32_e32 v11, vcc, v7, v3, vcc
	v_cmp_le_i64_e32 vcc, s[36:37], v[10:11]
	v_mov_b32_e32 v4, 0
	v_mov_b32_e32 v5, 0
	s_and_saveexec_b64 s[6:7], vcc
	s_cbranch_execz .LBB21_13
; %bb.8:                                ;   in Loop: Header=BB21_3 Depth=1
	v_mov_b32_e32 v3, s37
	v_subrev_co_u32_e32 v8, vcc, s36, v10
	v_subb_co_u32_e32 v9, vcc, v11, v3, vcc
	v_or_b32_e32 v3, s67, v9
	v_cmp_ne_u64_e32 vcc, 0, v[2:3]
                                        ; implicit-def: $vgpr4_vgpr5
	s_and_saveexec_b64 s[4:5], vcc
	s_xor_b64 s[10:11], exec, s[4:5]
	s_cbranch_execz .LBB21_10
; %bb.9:                                ;   in Loop: Header=BB21_3 Depth=1
	s_ashr_i32 s54, s67, 31
	s_add_u32 s4, s68, s54
	s_mov_b32 s55, s54
	s_addc_u32 s5, s67, s54
	s_xor_b64 s[56:57], s[4:5], s[54:55]
	v_cvt_f32_u32_e32 v3, s56
	v_cvt_f32_u32_e32 v4, s57
	s_sub_u32 s55, 0, s56
	s_subb_u32 s58, 0, s57
	v_ashrrev_i32_e32 v5, 31, v9
	v_mac_f32_e32 v3, 0x4f800000, v4
	v_rcp_f32_e32 v3, v3
	v_mul_f32_e32 v3, 0x5f7ffffc, v3
	v_mul_f32_e32 v4, 0x2f800000, v3
	v_trunc_f32_e32 v4, v4
	v_mac_f32_e32 v3, 0xcf800000, v4
	v_cvt_u32_f32_e32 v4, v4
	v_cvt_u32_f32_e32 v3, v3
	v_readfirstlane_b32 s59, v4
	v_readfirstlane_b32 s4, v3
	s_mul_i32 s5, s55, s59
	s_mul_hi_u32 s61, s55, s4
	s_mul_i32 s60, s58, s4
	s_add_i32 s5, s61, s5
	s_add_i32 s5, s5, s60
	s_mul_i32 s62, s55, s4
	s_mul_i32 s61, s4, s5
	s_mul_hi_u32 s63, s4, s62
	s_mul_hi_u32 s60, s4, s5
	s_add_u32 s61, s63, s61
	s_addc_u32 s60, 0, s60
	s_mul_hi_u32 s64, s59, s62
	s_mul_i32 s62, s59, s62
	s_add_u32 s61, s61, s62
	s_mul_hi_u32 s63, s59, s5
	s_addc_u32 s60, s60, s64
	s_addc_u32 s61, s63, 0
	s_mul_i32 s5, s59, s5
	s_add_u32 s5, s60, s5
	s_addc_u32 s60, 0, s61
	s_add_u32 s61, s4, s5
	s_cselect_b64 s[4:5], -1, 0
	s_cmp_lg_u64 s[4:5], 0
	s_addc_u32 s59, s59, s60
	s_mul_i32 s4, s55, s59
	s_mul_hi_u32 s5, s55, s61
	s_add_i32 s4, s5, s4
	s_mul_i32 s58, s58, s61
	s_add_i32 s4, s4, s58
	s_mul_i32 s55, s55, s61
	s_mul_hi_u32 s58, s59, s55
	s_mul_i32 s60, s59, s55
	s_mul_i32 s63, s61, s4
	s_mul_hi_u32 s55, s61, s55
	s_mul_hi_u32 s62, s61, s4
	s_add_u32 s55, s55, s63
	s_addc_u32 s62, 0, s62
	s_add_u32 s55, s55, s60
	s_mul_hi_u32 s5, s59, s4
	s_addc_u32 s55, s62, s58
	s_addc_u32 s5, s5, 0
	s_mul_i32 s4, s59, s4
	s_add_u32 s4, s55, s4
	s_addc_u32 s55, 0, s5
	s_add_u32 s58, s61, s4
	s_cselect_b64 s[4:5], -1, 0
	s_cmp_lg_u64 s[4:5], 0
	v_add_co_u32_e32 v3, vcc, v8, v5
	s_addc_u32 s55, s59, s55
	v_xor_b32_e32 v12, v3, v5
	v_addc_co_u32_e32 v8, vcc, v9, v5, vcc
	v_mad_u64_u32 v[3:4], s[4:5], v12, s55, 0
	v_mul_hi_u32 v9, v12, s58
	v_xor_b32_e32 v13, v8, v5
	v_xor_b32_e32 v5, s54, v5
	v_add_co_u32_e32 v14, vcc, v9, v3
	v_addc_co_u32_e32 v15, vcc, 0, v4, vcc
	v_mad_u64_u32 v[3:4], s[4:5], v13, s58, 0
	v_mad_u64_u32 v[8:9], s[4:5], v13, s55, 0
	v_add_co_u32_e32 v3, vcc, v14, v3
	v_addc_co_u32_e32 v3, vcc, v15, v4, vcc
	v_addc_co_u32_e32 v4, vcc, 0, v9, vcc
	v_add_co_u32_e32 v8, vcc, v3, v8
	v_addc_co_u32_e32 v9, vcc, 0, v4, vcc
	v_mul_lo_u32 v14, s57, v8
	v_mul_lo_u32 v15, s56, v9
	v_mad_u64_u32 v[3:4], s[4:5], s56, v8, 0
	v_add3_u32 v4, v4, v15, v14
	v_sub_u32_e32 v14, v13, v4
	v_mov_b32_e32 v15, s57
	v_sub_co_u32_e32 v3, vcc, v12, v3
	v_subb_co_u32_e64 v12, s[4:5], v14, v15, vcc
	v_subrev_co_u32_e64 v14, s[4:5], s56, v3
	v_subbrev_co_u32_e64 v12, s[4:5], 0, v12, s[4:5]
	v_cmp_le_u32_e64 s[4:5], s57, v12
	v_cndmask_b32_e64 v15, 0, -1, s[4:5]
	v_cmp_le_u32_e64 s[4:5], s56, v14
	v_cndmask_b32_e64 v14, 0, -1, s[4:5]
	v_cmp_eq_u32_e64 s[4:5], s57, v12
	v_cndmask_b32_e64 v12, v15, v14, s[4:5]
	v_add_co_u32_e64 v14, s[4:5], 2, v8
	v_subb_co_u32_e32 v4, vcc, v13, v4, vcc
	v_addc_co_u32_e64 v15, s[4:5], 0, v9, s[4:5]
	v_cmp_le_u32_e32 vcc, s57, v4
	v_add_co_u32_e64 v16, s[4:5], 1, v8
	v_cndmask_b32_e64 v13, 0, -1, vcc
	v_cmp_le_u32_e32 vcc, s56, v3
	v_addc_co_u32_e64 v17, s[4:5], 0, v9, s[4:5]
	v_cndmask_b32_e64 v3, 0, -1, vcc
	v_cmp_eq_u32_e32 vcc, s57, v4
	v_cmp_ne_u32_e64 s[4:5], 0, v12
	v_cndmask_b32_e32 v3, v13, v3, vcc
	v_cmp_ne_u32_e32 vcc, 0, v3
	v_cndmask_b32_e64 v4, v16, v14, s[4:5]
	v_cndmask_b32_e64 v12, v17, v15, s[4:5]
	v_cndmask_b32_e32 v4, v8, v4, vcc
	v_cndmask_b32_e32 v3, v9, v12, vcc
	v_xor_b32_e32 v4, v4, v5
	v_xor_b32_e32 v3, v3, v5
	v_sub_co_u32_e32 v4, vcc, v4, v5
	v_subb_co_u32_e32 v5, vcc, v3, v5, vcc
                                        ; implicit-def: $vgpr8
.LBB21_10:                              ;   in Loop: Header=BB21_3 Depth=1
	s_andn2_saveexec_b64 s[4:5], s[10:11]
	s_cbranch_execz .LBB21_12
; %bb.11:                               ;   in Loop: Header=BB21_3 Depth=1
	v_cvt_f32_u32_e32 v3, s68
	s_sub_i32 s10, 0, s68
	v_rcp_iflag_f32_e32 v3, v3
	v_mul_f32_e32 v3, 0x4f7ffffe, v3
	v_cvt_u32_f32_e32 v3, v3
	v_mul_lo_u32 v4, s10, v3
	v_mul_hi_u32 v4, v3, v4
	v_add_u32_e32 v3, v3, v4
	v_mul_hi_u32 v3, v8, v3
	v_mul_lo_u32 v4, v3, s68
	v_add_u32_e32 v5, 1, v3
	v_sub_u32_e32 v4, v8, v4
	v_subrev_u32_e32 v8, s68, v4
	v_cmp_le_u32_e32 vcc, s68, v4
	v_cndmask_b32_e32 v4, v4, v8, vcc
	v_cndmask_b32_e32 v3, v3, v5, vcc
	v_add_u32_e32 v5, 1, v3
	v_cmp_le_u32_e32 vcc, s68, v4
	v_cndmask_b32_e32 v4, v3, v5, vcc
	v_mov_b32_e32 v5, v2
.LBB21_12:                              ;   in Loop: Header=BB21_3 Depth=1
	s_or_b64 exec, exec, s[4:5]
	v_add_co_u32_e32 v4, vcc, 1, v4
	v_addc_co_u32_e32 v5, vcc, 0, v5, vcc
.LBB21_13:                              ;   in Loop: Header=BB21_3 Depth=1
	s_or_b64 exec, exec, s[6:7]
	v_or_b32_e32 v3, s67, v11
	v_cmp_ne_u64_e32 vcc, 0, v[2:3]
                                        ; implicit-def: $vgpr8_vgpr9
	s_and_saveexec_b64 s[4:5], vcc
	s_xor_b64 s[6:7], exec, s[4:5]
	s_cbranch_execz .LBB21_15
; %bb.14:                               ;   in Loop: Header=BB21_3 Depth=1
	s_ashr_i32 s10, s67, 31
	s_add_u32 s4, s68, s10
	s_mov_b32 s11, s10
	s_addc_u32 s5, s67, s10
	s_xor_b64 s[54:55], s[4:5], s[10:11]
	v_cvt_f32_u32_e32 v3, s54
	v_cvt_f32_u32_e32 v8, s55
	s_sub_u32 s11, 0, s54
	s_subb_u32 s56, 0, s55
	v_mac_f32_e32 v3, 0x4f800000, v8
	v_rcp_f32_e32 v3, v3
	v_mul_f32_e32 v3, 0x5f7ffffc, v3
	v_mul_f32_e32 v8, 0x2f800000, v3
	v_trunc_f32_e32 v8, v8
	v_mac_f32_e32 v3, 0xcf800000, v8
	v_cvt_u32_f32_e32 v8, v8
	v_cvt_u32_f32_e32 v3, v3
	v_readfirstlane_b32 s57, v8
	v_readfirstlane_b32 s4, v3
	s_mul_i32 s5, s11, s57
	s_mul_hi_u32 s59, s11, s4
	s_mul_i32 s58, s56, s4
	s_add_i32 s5, s59, s5
	s_add_i32 s5, s5, s58
	s_mul_i32 s60, s11, s4
	s_mul_i32 s59, s4, s5
	s_mul_hi_u32 s61, s4, s60
	s_mul_hi_u32 s58, s4, s5
	s_add_u32 s59, s61, s59
	s_addc_u32 s58, 0, s58
	s_mul_hi_u32 s62, s57, s60
	s_mul_i32 s60, s57, s60
	s_add_u32 s59, s59, s60
	s_mul_hi_u32 s61, s57, s5
	s_addc_u32 s58, s58, s62
	s_addc_u32 s59, s61, 0
	s_mul_i32 s5, s57, s5
	s_add_u32 s5, s58, s5
	s_addc_u32 s58, 0, s59
	s_add_u32 s59, s4, s5
	s_cselect_b64 s[4:5], -1, 0
	s_cmp_lg_u64 s[4:5], 0
	s_addc_u32 s57, s57, s58
	s_mul_i32 s4, s11, s57
	s_mul_hi_u32 s5, s11, s59
	s_add_i32 s4, s5, s4
	s_mul_i32 s56, s56, s59
	s_add_i32 s4, s4, s56
	s_mul_i32 s11, s11, s59
	s_mul_hi_u32 s56, s57, s11
	s_mul_i32 s58, s57, s11
	s_mul_i32 s61, s59, s4
	s_mul_hi_u32 s11, s59, s11
	s_mul_hi_u32 s60, s59, s4
	s_add_u32 s11, s11, s61
	s_addc_u32 s60, 0, s60
	s_add_u32 s11, s11, s58
	s_mul_hi_u32 s5, s57, s4
	s_addc_u32 s11, s60, s56
	s_addc_u32 s5, s5, 0
	s_mul_i32 s4, s57, s4
	s_add_u32 s4, s11, s4
	s_addc_u32 s11, 0, s5
	s_add_u32 s56, s59, s4
	s_cselect_b64 s[4:5], -1, 0
	v_ashrrev_i32_e32 v3, 31, v11
	s_cmp_lg_u64 s[4:5], 0
	v_add_co_u32_e32 v8, vcc, v10, v3
	s_addc_u32 s11, s57, s11
	v_xor_b32_e32 v12, v8, v3
	v_addc_co_u32_e32 v10, vcc, v11, v3, vcc
	v_mad_u64_u32 v[8:9], s[4:5], v12, s11, 0
	v_mul_hi_u32 v11, v12, s56
	v_xor_b32_e32 v13, v10, v3
	v_xor_b32_e32 v3, s10, v3
	v_add_co_u32_e32 v14, vcc, v11, v8
	v_addc_co_u32_e32 v15, vcc, 0, v9, vcc
	v_mad_u64_u32 v[8:9], s[4:5], v13, s56, 0
	v_mad_u64_u32 v[10:11], s[4:5], v13, s11, 0
	v_add_co_u32_e32 v8, vcc, v14, v8
	v_addc_co_u32_e32 v8, vcc, v15, v9, vcc
	v_addc_co_u32_e32 v9, vcc, 0, v11, vcc
	v_add_co_u32_e32 v10, vcc, v8, v10
	v_addc_co_u32_e32 v11, vcc, 0, v9, vcc
	v_mul_lo_u32 v14, s55, v10
	v_mul_lo_u32 v15, s54, v11
	v_mad_u64_u32 v[8:9], s[4:5], s54, v10, 0
	v_add3_u32 v9, v9, v15, v14
	v_sub_u32_e32 v14, v13, v9
	v_mov_b32_e32 v15, s55
	v_sub_co_u32_e32 v8, vcc, v12, v8
	v_subb_co_u32_e64 v12, s[4:5], v14, v15, vcc
	v_subrev_co_u32_e64 v14, s[4:5], s54, v8
	v_subbrev_co_u32_e64 v12, s[4:5], 0, v12, s[4:5]
	v_cmp_le_u32_e64 s[4:5], s55, v12
	v_cndmask_b32_e64 v15, 0, -1, s[4:5]
	v_cmp_le_u32_e64 s[4:5], s54, v14
	v_cndmask_b32_e64 v14, 0, -1, s[4:5]
	v_cmp_eq_u32_e64 s[4:5], s55, v12
	v_cndmask_b32_e64 v12, v15, v14, s[4:5]
	v_add_co_u32_e64 v14, s[4:5], 2, v10
	v_subb_co_u32_e32 v9, vcc, v13, v9, vcc
	v_addc_co_u32_e64 v15, s[4:5], 0, v11, s[4:5]
	v_cmp_le_u32_e32 vcc, s55, v9
	v_add_co_u32_e64 v16, s[4:5], 1, v10
	v_cndmask_b32_e64 v13, 0, -1, vcc
	v_cmp_le_u32_e32 vcc, s54, v8
	v_addc_co_u32_e64 v17, s[4:5], 0, v11, s[4:5]
	v_cndmask_b32_e64 v8, 0, -1, vcc
	v_cmp_eq_u32_e32 vcc, s55, v9
	v_cmp_ne_u32_e64 s[4:5], 0, v12
	v_cndmask_b32_e32 v8, v13, v8, vcc
	v_cndmask_b32_e64 v12, v17, v15, s[4:5]
	v_cmp_ne_u32_e32 vcc, 0, v8
	v_cndmask_b32_e64 v9, v16, v14, s[4:5]
	v_cndmask_b32_e32 v8, v11, v12, vcc
	v_cndmask_b32_e32 v9, v10, v9, vcc
	v_xor_b32_e32 v10, v8, v3
	v_xor_b32_e32 v8, v9, v3
	v_sub_co_u32_e32 v8, vcc, v8, v3
	v_subb_co_u32_e32 v9, vcc, v10, v3, vcc
                                        ; implicit-def: $vgpr10
.LBB21_15:                              ;   in Loop: Header=BB21_3 Depth=1
	s_andn2_saveexec_b64 s[4:5], s[6:7]
	s_cbranch_execz .LBB21_17
; %bb.16:                               ;   in Loop: Header=BB21_3 Depth=1
	v_cvt_f32_u32_e32 v3, s68
	s_sub_i32 s6, 0, s68
	v_rcp_iflag_f32_e32 v3, v3
	v_mul_f32_e32 v3, 0x4f7ffffe, v3
	v_cvt_u32_f32_e32 v3, v3
	v_mul_lo_u32 v8, s6, v3
	v_mul_hi_u32 v8, v3, v8
	v_add_u32_e32 v3, v3, v8
	v_mul_hi_u32 v3, v10, v3
	v_mul_lo_u32 v8, v3, s68
	v_add_u32_e32 v9, 1, v3
	v_sub_u32_e32 v8, v10, v8
	v_subrev_u32_e32 v10, s68, v8
	v_cmp_le_u32_e32 vcc, s68, v8
	v_cndmask_b32_e32 v8, v8, v10, vcc
	v_cndmask_b32_e32 v3, v3, v9, vcc
	v_add_u32_e32 v9, 1, v3
	v_cmp_le_u32_e32 vcc, s68, v8
	v_cndmask_b32_e32 v8, v3, v9, vcc
	v_mov_b32_e32 v9, v2
.LBB21_17:                              ;   in Loop: Header=BB21_3 Depth=1
	s_or_b64 exec, exec, s[4:5]
	v_mul_lo_u32 v3, v7, s22
	v_mul_lo_u32 v10, v6, s23
	v_mad_u64_u32 v[6:7], s[4:5], v6, s22, 0
	v_add3_u32 v3, v7, v10, v3
	v_sub_co_u32_e32 v6, vcc, v0, v6
	v_subb_co_u32_e32 v3, vcc, v1, v3, vcc
	v_mov_b32_e32 v7, s69
	v_add_co_u32_e32 v10, vcc, s70, v6
	v_addc_co_u32_e32 v11, vcc, v3, v7, vcc
	v_cmp_le_i64_e32 vcc, s[38:39], v[10:11]
	v_mov_b32_e32 v6, 0
	v_mov_b32_e32 v7, 0
	s_and_saveexec_b64 s[6:7], vcc
	s_cbranch_execz .LBB21_23
; %bb.18:                               ;   in Loop: Header=BB21_3 Depth=1
	v_mov_b32_e32 v3, s39
	v_subrev_co_u32_e32 v12, vcc, s38, v10
	v_subb_co_u32_e32 v13, vcc, v11, v3, vcc
	v_or_b32_e32 v3, s71, v13
	v_cmp_ne_u64_e32 vcc, 0, v[2:3]
                                        ; implicit-def: $vgpr6_vgpr7
	s_and_saveexec_b64 s[4:5], vcc
	s_xor_b64 s[10:11], exec, s[4:5]
	s_cbranch_execz .LBB21_20
; %bb.19:                               ;   in Loop: Header=BB21_3 Depth=1
	s_ashr_i32 s54, s71, 31
	s_add_u32 s4, s72, s54
	s_mov_b32 s55, s54
	s_addc_u32 s5, s71, s54
	s_xor_b64 s[56:57], s[4:5], s[54:55]
	v_cvt_f32_u32_e32 v3, s56
	v_cvt_f32_u32_e32 v6, s57
	s_sub_u32 s55, 0, s56
	s_subb_u32 s58, 0, s57
	v_mac_f32_e32 v3, 0x4f800000, v6
	v_rcp_f32_e32 v3, v3
	v_mul_f32_e32 v3, 0x5f7ffffc, v3
	v_mul_f32_e32 v6, 0x2f800000, v3
	v_trunc_f32_e32 v6, v6
	v_mac_f32_e32 v3, 0xcf800000, v6
	v_cvt_u32_f32_e32 v6, v6
	v_cvt_u32_f32_e32 v3, v3
	v_readfirstlane_b32 s59, v6
	v_readfirstlane_b32 s4, v3
	s_mul_i32 s5, s55, s59
	s_mul_hi_u32 s61, s55, s4
	s_mul_i32 s60, s58, s4
	s_add_i32 s5, s61, s5
	s_add_i32 s5, s5, s60
	s_mul_i32 s62, s55, s4
	s_mul_i32 s61, s4, s5
	s_mul_hi_u32 s63, s4, s62
	s_mul_hi_u32 s60, s4, s5
	s_add_u32 s61, s63, s61
	s_addc_u32 s60, 0, s60
	s_mul_hi_u32 s64, s59, s62
	s_mul_i32 s62, s59, s62
	s_add_u32 s61, s61, s62
	s_mul_hi_u32 s63, s59, s5
	s_addc_u32 s60, s60, s64
	s_addc_u32 s61, s63, 0
	s_mul_i32 s5, s59, s5
	s_add_u32 s5, s60, s5
	s_addc_u32 s60, 0, s61
	s_add_u32 s61, s4, s5
	s_cselect_b64 s[4:5], -1, 0
	s_cmp_lg_u64 s[4:5], 0
	s_addc_u32 s59, s59, s60
	s_mul_i32 s4, s55, s59
	s_mul_hi_u32 s5, s55, s61
	s_add_i32 s4, s5, s4
	s_mul_i32 s58, s58, s61
	s_add_i32 s4, s4, s58
	s_mul_i32 s55, s55, s61
	s_mul_hi_u32 s58, s59, s55
	s_mul_i32 s60, s59, s55
	s_mul_i32 s63, s61, s4
	s_mul_hi_u32 s55, s61, s55
	s_mul_hi_u32 s62, s61, s4
	s_add_u32 s55, s55, s63
	s_addc_u32 s62, 0, s62
	s_add_u32 s55, s55, s60
	s_mul_hi_u32 s5, s59, s4
	s_addc_u32 s55, s62, s58
	s_addc_u32 s5, s5, 0
	s_mul_i32 s4, s59, s4
	s_add_u32 s4, s55, s4
	s_addc_u32 s55, 0, s5
	s_add_u32 s58, s61, s4
	s_cselect_b64 s[4:5], -1, 0
	v_ashrrev_i32_e32 v3, 31, v13
	s_cmp_lg_u64 s[4:5], 0
	v_add_co_u32_e32 v6, vcc, v12, v3
	s_addc_u32 s55, s59, s55
	v_xor_b32_e32 v14, v6, v3
	v_addc_co_u32_e32 v12, vcc, v13, v3, vcc
	v_mad_u64_u32 v[6:7], s[4:5], v14, s55, 0
	v_mul_hi_u32 v13, v14, s58
	v_xor_b32_e32 v15, v12, v3
	v_xor_b32_e32 v3, s54, v3
	v_add_co_u32_e32 v16, vcc, v13, v6
	v_addc_co_u32_e32 v17, vcc, 0, v7, vcc
	v_mad_u64_u32 v[6:7], s[4:5], v15, s58, 0
	v_mad_u64_u32 v[12:13], s[4:5], v15, s55, 0
	v_add_co_u32_e32 v6, vcc, v16, v6
	v_addc_co_u32_e32 v6, vcc, v17, v7, vcc
	v_addc_co_u32_e32 v7, vcc, 0, v13, vcc
	v_add_co_u32_e32 v12, vcc, v6, v12
	v_addc_co_u32_e32 v13, vcc, 0, v7, vcc
	v_mul_lo_u32 v16, s57, v12
	v_mul_lo_u32 v17, s56, v13
	v_mad_u64_u32 v[6:7], s[4:5], s56, v12, 0
	v_add3_u32 v7, v7, v17, v16
	v_sub_u32_e32 v16, v15, v7
	v_mov_b32_e32 v17, s57
	v_sub_co_u32_e32 v6, vcc, v14, v6
	v_subb_co_u32_e64 v14, s[4:5], v16, v17, vcc
	v_subrev_co_u32_e64 v16, s[4:5], s56, v6
	v_subbrev_co_u32_e64 v14, s[4:5], 0, v14, s[4:5]
	v_cmp_le_u32_e64 s[4:5], s57, v14
	v_cndmask_b32_e64 v17, 0, -1, s[4:5]
	v_cmp_le_u32_e64 s[4:5], s56, v16
	v_cndmask_b32_e64 v16, 0, -1, s[4:5]
	v_cmp_eq_u32_e64 s[4:5], s57, v14
	v_cndmask_b32_e64 v14, v17, v16, s[4:5]
	v_add_co_u32_e64 v16, s[4:5], 2, v12
	v_subb_co_u32_e32 v7, vcc, v15, v7, vcc
	v_addc_co_u32_e64 v17, s[4:5], 0, v13, s[4:5]
	v_cmp_le_u32_e32 vcc, s57, v7
	v_add_co_u32_e64 v18, s[4:5], 1, v12
	v_cndmask_b32_e64 v15, 0, -1, vcc
	v_cmp_le_u32_e32 vcc, s56, v6
	v_addc_co_u32_e64 v19, s[4:5], 0, v13, s[4:5]
	v_cndmask_b32_e64 v6, 0, -1, vcc
	v_cmp_eq_u32_e32 vcc, s57, v7
	v_cmp_ne_u32_e64 s[4:5], 0, v14
	v_cndmask_b32_e32 v6, v15, v6, vcc
	v_cndmask_b32_e64 v14, v19, v17, s[4:5]
	v_cmp_ne_u32_e32 vcc, 0, v6
	v_cndmask_b32_e64 v7, v18, v16, s[4:5]
	v_cndmask_b32_e32 v6, v13, v14, vcc
	v_cndmask_b32_e32 v7, v12, v7, vcc
	v_xor_b32_e32 v12, v6, v3
	v_xor_b32_e32 v6, v7, v3
	v_sub_co_u32_e32 v6, vcc, v6, v3
	v_subb_co_u32_e32 v7, vcc, v12, v3, vcc
                                        ; implicit-def: $vgpr12
.LBB21_20:                              ;   in Loop: Header=BB21_3 Depth=1
	s_andn2_saveexec_b64 s[4:5], s[10:11]
	s_cbranch_execz .LBB21_22
; %bb.21:                               ;   in Loop: Header=BB21_3 Depth=1
	v_cvt_f32_u32_e32 v3, s72
	s_sub_i32 s10, 0, s72
	v_rcp_iflag_f32_e32 v3, v3
	v_mul_f32_e32 v3, 0x4f7ffffe, v3
	v_cvt_u32_f32_e32 v3, v3
	v_mul_lo_u32 v6, s10, v3
	v_mul_hi_u32 v6, v3, v6
	v_add_u32_e32 v3, v3, v6
	v_mul_hi_u32 v3, v12, v3
	v_mul_lo_u32 v6, v3, s72
	v_add_u32_e32 v7, 1, v3
	v_sub_u32_e32 v6, v12, v6
	v_subrev_u32_e32 v12, s72, v6
	v_cmp_le_u32_e32 vcc, s72, v6
	v_cndmask_b32_e32 v6, v6, v12, vcc
	v_cndmask_b32_e32 v3, v3, v7, vcc
	v_add_u32_e32 v7, 1, v3
	v_cmp_le_u32_e32 vcc, s72, v6
	v_cndmask_b32_e32 v6, v3, v7, vcc
	v_mov_b32_e32 v7, v2
.LBB21_22:                              ;   in Loop: Header=BB21_3 Depth=1
	s_or_b64 exec, exec, s[4:5]
	v_add_co_u32_e32 v6, vcc, 1, v6
	v_addc_co_u32_e32 v7, vcc, 0, v7, vcc
.LBB21_23:                              ;   in Loop: Header=BB21_3 Depth=1
	s_or_b64 exec, exec, s[6:7]
	v_or_b32_e32 v3, s71, v11
	v_cmp_ne_u64_e32 vcc, 0, v[2:3]
                                        ; implicit-def: $vgpr12_vgpr13
	s_and_saveexec_b64 s[4:5], vcc
	s_xor_b64 s[6:7], exec, s[4:5]
	s_cbranch_execnz .LBB21_26
; %bb.24:                               ;   in Loop: Header=BB21_3 Depth=1
	s_andn2_saveexec_b64 s[4:5], s[6:7]
	s_cbranch_execnz .LBB21_27
.LBB21_25:                              ;   in Loop: Header=BB21_3 Depth=1
	s_or_b64 exec, exec, s[4:5]
	s_andn2_b64 vcc, exec, s[0:1]
	s_cbranch_vccnz .LBB21_2
	s_branch .LBB21_28
.LBB21_26:                              ;   in Loop: Header=BB21_3 Depth=1
	s_ashr_i32 s10, s71, 31
	s_add_u32 s4, s72, s10
	s_mov_b32 s11, s10
	s_addc_u32 s5, s71, s10
	s_xor_b64 s[54:55], s[4:5], s[10:11]
	v_cvt_f32_u32_e32 v3, s54
	v_cvt_f32_u32_e32 v12, s55
	s_sub_u32 s11, 0, s54
	s_subb_u32 s56, 0, s55
	v_mac_f32_e32 v3, 0x4f800000, v12
	v_rcp_f32_e32 v3, v3
	v_mul_f32_e32 v3, 0x5f7ffffc, v3
	v_mul_f32_e32 v12, 0x2f800000, v3
	v_trunc_f32_e32 v12, v12
	v_mac_f32_e32 v3, 0xcf800000, v12
	v_cvt_u32_f32_e32 v12, v12
	v_cvt_u32_f32_e32 v3, v3
	v_readfirstlane_b32 s57, v12
	v_readfirstlane_b32 s4, v3
	s_mul_i32 s5, s11, s57
	s_mul_hi_u32 s59, s11, s4
	s_mul_i32 s58, s56, s4
	s_add_i32 s5, s59, s5
	s_add_i32 s5, s5, s58
	s_mul_i32 s60, s11, s4
	s_mul_i32 s59, s4, s5
	s_mul_hi_u32 s61, s4, s60
	s_mul_hi_u32 s58, s4, s5
	s_add_u32 s59, s61, s59
	s_addc_u32 s58, 0, s58
	s_mul_hi_u32 s62, s57, s60
	s_mul_i32 s60, s57, s60
	s_add_u32 s59, s59, s60
	s_mul_hi_u32 s61, s57, s5
	s_addc_u32 s58, s58, s62
	s_addc_u32 s59, s61, 0
	s_mul_i32 s5, s57, s5
	s_add_u32 s5, s58, s5
	s_addc_u32 s58, 0, s59
	s_add_u32 s59, s4, s5
	s_cselect_b64 s[4:5], -1, 0
	s_cmp_lg_u64 s[4:5], 0
	s_addc_u32 s57, s57, s58
	s_mul_i32 s4, s11, s57
	s_mul_hi_u32 s5, s11, s59
	s_add_i32 s4, s5, s4
	s_mul_i32 s56, s56, s59
	s_add_i32 s4, s4, s56
	s_mul_i32 s11, s11, s59
	s_mul_hi_u32 s56, s57, s11
	s_mul_i32 s58, s57, s11
	s_mul_i32 s61, s59, s4
	s_mul_hi_u32 s11, s59, s11
	s_mul_hi_u32 s60, s59, s4
	s_add_u32 s11, s11, s61
	s_addc_u32 s60, 0, s60
	s_add_u32 s11, s11, s58
	s_mul_hi_u32 s5, s57, s4
	s_addc_u32 s11, s60, s56
	s_addc_u32 s5, s5, 0
	s_mul_i32 s4, s57, s4
	s_add_u32 s4, s11, s4
	s_addc_u32 s11, 0, s5
	s_add_u32 s56, s59, s4
	s_cselect_b64 s[4:5], -1, 0
	v_ashrrev_i32_e32 v3, 31, v11
	s_cmp_lg_u64 s[4:5], 0
	v_add_co_u32_e32 v10, vcc, v10, v3
	s_addc_u32 s11, s57, s11
	v_xor_b32_e32 v14, v10, v3
	v_addc_co_u32_e32 v12, vcc, v11, v3, vcc
	v_mad_u64_u32 v[10:11], s[4:5], v14, s11, 0
	v_mul_hi_u32 v13, v14, s56
	v_xor_b32_e32 v15, v12, v3
	v_xor_b32_e32 v3, s10, v3
	v_add_co_u32_e32 v16, vcc, v13, v10
	v_addc_co_u32_e32 v17, vcc, 0, v11, vcc
	v_mad_u64_u32 v[10:11], s[4:5], v15, s56, 0
	v_mad_u64_u32 v[12:13], s[4:5], v15, s11, 0
	v_add_co_u32_e32 v10, vcc, v16, v10
	v_addc_co_u32_e32 v10, vcc, v17, v11, vcc
	v_addc_co_u32_e32 v11, vcc, 0, v13, vcc
	v_add_co_u32_e32 v12, vcc, v10, v12
	v_addc_co_u32_e32 v13, vcc, 0, v11, vcc
	v_mul_lo_u32 v16, s55, v12
	v_mul_lo_u32 v17, s54, v13
	v_mad_u64_u32 v[10:11], s[4:5], s54, v12, 0
	v_add3_u32 v11, v11, v17, v16
	v_sub_u32_e32 v16, v15, v11
	v_mov_b32_e32 v17, s55
	v_sub_co_u32_e32 v10, vcc, v14, v10
	v_subb_co_u32_e64 v14, s[4:5], v16, v17, vcc
	v_subrev_co_u32_e64 v16, s[4:5], s54, v10
	v_subbrev_co_u32_e64 v14, s[4:5], 0, v14, s[4:5]
	v_cmp_le_u32_e64 s[4:5], s55, v14
	v_cndmask_b32_e64 v17, 0, -1, s[4:5]
	v_cmp_le_u32_e64 s[4:5], s54, v16
	v_cndmask_b32_e64 v16, 0, -1, s[4:5]
	v_cmp_eq_u32_e64 s[4:5], s55, v14
	v_cndmask_b32_e64 v14, v17, v16, s[4:5]
	v_add_co_u32_e64 v16, s[4:5], 2, v12
	v_subb_co_u32_e32 v11, vcc, v15, v11, vcc
	v_addc_co_u32_e64 v17, s[4:5], 0, v13, s[4:5]
	v_cmp_le_u32_e32 vcc, s55, v11
	v_add_co_u32_e64 v18, s[4:5], 1, v12
	v_cndmask_b32_e64 v15, 0, -1, vcc
	v_cmp_le_u32_e32 vcc, s54, v10
	v_addc_co_u32_e64 v19, s[4:5], 0, v13, s[4:5]
	v_cndmask_b32_e64 v10, 0, -1, vcc
	v_cmp_eq_u32_e32 vcc, s55, v11
	v_cmp_ne_u32_e64 s[4:5], 0, v14
	v_cndmask_b32_e32 v10, v15, v10, vcc
	v_cmp_ne_u32_e32 vcc, 0, v10
	v_cndmask_b32_e64 v11, v18, v16, s[4:5]
	v_cndmask_b32_e64 v14, v19, v17, s[4:5]
	v_cndmask_b32_e32 v11, v12, v11, vcc
	v_cndmask_b32_e32 v10, v13, v14, vcc
	v_xor_b32_e32 v11, v11, v3
	v_xor_b32_e32 v10, v10, v3
	v_sub_co_u32_e32 v12, vcc, v11, v3
	v_subb_co_u32_e32 v13, vcc, v10, v3, vcc
                                        ; implicit-def: $vgpr10
	s_andn2_saveexec_b64 s[4:5], s[6:7]
	s_cbranch_execz .LBB21_25
.LBB21_27:                              ;   in Loop: Header=BB21_3 Depth=1
	v_cvt_f32_u32_e32 v3, s72
	s_sub_i32 s6, 0, s72
	v_mov_b32_e32 v13, v2
	v_rcp_iflag_f32_e32 v3, v3
	v_mul_f32_e32 v3, 0x4f7ffffe, v3
	v_cvt_u32_f32_e32 v3, v3
	v_mul_lo_u32 v11, s6, v3
	v_mul_hi_u32 v11, v3, v11
	v_add_u32_e32 v3, v3, v11
	v_mul_hi_u32 v3, v10, v3
	v_mul_lo_u32 v11, v3, s72
	v_add_u32_e32 v12, 1, v3
	v_sub_u32_e32 v10, v10, v11
	v_subrev_u32_e32 v11, s72, v10
	v_cmp_le_u32_e32 vcc, s72, v10
	v_cndmask_b32_e32 v10, v10, v11, vcc
	v_cndmask_b32_e32 v3, v3, v12, vcc
	v_add_u32_e32 v11, 1, v3
	v_cmp_le_u32_e32 vcc, s72, v10
	v_cndmask_b32_e32 v12, v3, v11, vcc
	s_or_b64 exec, exec, s[4:5]
	s_andn2_b64 vcc, exec, s[0:1]
	s_cbranch_vccnz .LBB21_2
.LBB21_28:                              ;   in Loop: Header=BB21_3 Depth=1
	v_add_co_u32_e32 v10, vcc, 1, v12
	v_addc_co_u32_e32 v11, vcc, 0, v13, vcc
	v_cmp_gt_i64_e32 vcc, s[26:27], v[10:11]
	v_mov_b32_e32 v3, s27
	v_cndmask_b32_e32 v11, v3, v11, vcc
	v_mov_b32_e32 v3, s26
	v_cndmask_b32_e32 v10, v3, v10, vcc
	v_add_co_u32_e32 v8, vcc, 1, v8
	v_addc_co_u32_e32 v9, vcc, 0, v9, vcc
	v_cmp_gt_i64_e32 vcc, s[24:25], v[8:9]
	v_mov_b32_e32 v3, s25
	v_lshlrev_b64 v[12:13], 2, v[0:1]
	v_cndmask_b32_e32 v9, v3, v9, vcc
	v_mov_b32_e32 v3, s24
	v_cndmask_b32_e32 v8, v3, v8, vcc
	v_mov_b32_e32 v14, s35
	v_add_co_u32_e32 v3, vcc, s34, v12
	v_addc_co_u32_e32 v32, vcc, v14, v13, vcc
	v_mov_b32_e32 v12, s74
	v_add_co_u32_e32 v13, vcc, s75, v4
	v_addc_co_u32_e32 v12, vcc, v12, v5, vcc
	v_mul_lo_u32 v12, s26, v12
	v_mul_lo_u32 v16, s27, v13
	v_mad_u64_u32 v[14:15], s[4:5], s26, v13, v[6:7]
	s_load_dword s76, s[30:31], 0x4
	v_cmp_lt_i64_e64 s[4:5], v[4:5], v[8:9]
	v_add3_u32 v15, v16, v15, v12
	v_lshlrev_b64 v[12:13], 3, v[14:15]
	v_mov_b32_e32 v16, s15
	v_add_co_u32_e32 v12, vcc, s14, v12
	v_lshlrev_b64 v[14:15], 2, v[14:15]
	v_addc_co_u32_e32 v13, vcc, v16, v13, vcc
	s_waitcnt lgkmcnt(0)
	s_mul_i32 s10, s41, s76
	s_mul_hi_u32 s11, s40, s76
	v_cmp_lt_i64_e64 s[6:7], v[6:7], v[10:11]
	s_add_i32 s77, s11, s10
	v_mov_b32_e32 v16, s13
	v_add_co_u32_e32 v14, vcc, s12, v14
	s_mul_i32 s10, s47, s76
	s_mul_hi_u32 s11, s46, s76
	s_mul_i32 s78, s40, s76
	v_addc_co_u32_e32 v15, vcc, v16, v15, vcc
	s_add_i32 s79, s11, s10
	s_mul_i32 s80, s46, s76
	s_mov_b64 s[54:55], s[28:29]
	s_branch .LBB21_30
.LBB21_29:                              ;   in Loop: Header=BB21_30 Depth=2
	v_mov_b32_e32 v16, s77
	v_add_co_u32_e32 v12, vcc, s78, v12
	s_add_u32 s54, s54, s76
	v_addc_co_u32_e32 v13, vcc, v13, v16, vcc
	v_mov_b32_e32 v16, s16
	s_addc_u32 s55, s55, 0
	v_mov_b32_e32 v17, s17
	v_cmp_ge_i64_e32 vcc, s[54:55], v[16:17]
	v_mov_b32_e32 v18, s79
	v_add_co_u32_e64 v14, s[10:11], s80, v14
	v_addc_co_u32_e64 v15, s[10:11], v15, v18, s[10:11]
	s_cbranch_vccnz .LBB21_2
.LBB21_30:                              ;   Parent Loop BB21_3 Depth=1
                                        ; =>  This Loop Header: Depth=2
                                        ;       Child Loop BB21_34 Depth 3
                                        ;         Child Loop BB21_38 Depth 4
                                        ;           Child Loop BB21_41 Depth 5
	s_andn2_b64 vcc, exec, s[2:3]
	s_cbranch_vccnz .LBB21_29
; %bb.31:                               ;   in Loop: Header=BB21_30 Depth=2
	s_load_dword s81, s[30:31], 0x8
	s_mul_i32 s10, s54, s19
	s_mul_hi_u32 s11, s54, s18
	s_add_i32 s10, s11, s10
	s_mul_i32 s11, s55, s18
	s_add_i32 s82, s10, s11
	s_waitcnt lgkmcnt(0)
	s_mul_i32 s10, s43, s81
	s_mul_hi_u32 s11, s42, s81
	s_add_i32 s84, s11, s10
	s_mul_i32 s10, s49, s81
	s_mul_hi_u32 s11, s48, s81
	v_mov_b32_e32 v17, v15
	v_mov_b32_e32 v19, v13
	s_mul_i32 s83, s54, s18
	s_mul_i32 s85, s42, s81
	s_add_i32 s86, s11, s10
	s_mul_i32 s87, s48, s81
	v_mov_b32_e32 v16, v14
	v_mov_b32_e32 v18, v12
	s_mov_b64 s[56:57], s[8:9]
	s_branch .LBB21_34
.LBB21_32:                              ;   in Loop: Header=BB21_34 Depth=3
	s_or_b64 exec, exec, s[60:61]
.LBB21_33:                              ;   in Loop: Header=BB21_34 Depth=3
	s_or_b64 exec, exec, s[58:59]
	s_add_u32 s10, s56, s83
	s_addc_u32 s11, s57, s82
	s_mul_i32 s11, s20, s11
	s_mul_hi_u32 s58, s20, s10
	s_add_i32 s11, s58, s11
	s_mul_i32 s58, s21, s10
	s_add_i32 s11, s11, s58
	s_mul_i32 s10, s20, s10
	s_lshl_b64 s[10:11], s[10:11], 2
	v_mov_b32_e32 v21, s11
	v_add_co_u32_e32 v20, vcc, s10, v3
	v_addc_co_u32_e32 v21, vcc, v32, v21, vcc
	global_store_dword v[20:21], v33, off
	v_mov_b32_e32 v20, s84
	v_add_co_u32_e32 v18, vcc, s85, v18
	s_add_u32 s56, s56, s81
	v_addc_co_u32_e32 v19, vcc, v19, v20, vcc
	v_mov_b32_e32 v21, s19
	s_addc_u32 s57, s57, 0
	v_mov_b32_e32 v20, s18
	v_cmp_ge_i64_e32 vcc, s[56:57], v[20:21]
	v_mov_b32_e32 v22, s86
	v_add_co_u32_e64 v16, s[10:11], s87, v16
	v_addc_co_u32_e64 v17, s[10:11], v17, v22, s[10:11]
	s_cbranch_vccnz .LBB21_29
.LBB21_34:                              ;   Parent Loop BB21_3 Depth=1
                                        ;     Parent Loop BB21_30 Depth=2
                                        ; =>    This Loop Header: Depth=3
                                        ;         Child Loop BB21_38 Depth 4
                                        ;           Child Loop BB21_41 Depth 5
	v_mov_b32_e32 v33, 0
	s_and_saveexec_b64 s[58:59], s[4:5]
	s_cbranch_execz .LBB21_33
; %bb.35:                               ;   in Loop: Header=BB21_34 Depth=3
	v_mov_b32_e32 v21, v17
	v_mov_b32_e32 v23, v19
	;; [unrolled: 1-line block ×4, first 2 shown]
	s_mov_b64 s[60:61], 0
	v_mov_b32_e32 v20, v16
	v_mov_b32_e32 v22, v18
	;; [unrolled: 1-line block ×3, first 2 shown]
	s_branch .LBB21_38
.LBB21_36:                              ;   in Loop: Header=BB21_38 Depth=4
	s_or_b64 exec, exec, s[64:65]
.LBB21_37:                              ;   in Loop: Header=BB21_38 Depth=4
	s_or_b64 exec, exec, s[62:63]
	v_add_co_u32_e32 v24, vcc, 1, v24
	v_addc_co_u32_e32 v25, vcc, 0, v25, vcc
	v_mov_b32_e32 v26, s45
	v_add_co_u32_e32 v22, vcc, s44, v22
	v_addc_co_u32_e32 v23, vcc, v23, v26, vcc
	v_cmp_ge_i64_e32 vcc, v[24:25], v[8:9]
	v_mov_b32_e32 v26, s51
	s_or_b64 s[60:61], vcc, s[60:61]
	v_add_co_u32_e32 v20, vcc, s50, v20
	v_addc_co_u32_e32 v21, vcc, v21, v26, vcc
	s_andn2_b64 exec, exec, s[60:61]
	s_cbranch_execz .LBB21_32
.LBB21_38:                              ;   Parent Loop BB21_3 Depth=1
                                        ;     Parent Loop BB21_30 Depth=2
                                        ;       Parent Loop BB21_34 Depth=3
                                        ; =>      This Loop Header: Depth=4
                                        ;           Child Loop BB21_41 Depth 5
	s_and_saveexec_b64 s[62:63], s[6:7]
	s_cbranch_execz .LBB21_37
; %bb.39:                               ;   in Loop: Header=BB21_38 Depth=4
	v_mov_b32_e32 v27, v21
	v_mov_b32_e32 v29, v23
	;; [unrolled: 1-line block ×3, first 2 shown]
	s_mov_b64 s[64:65], 0
	v_mov_b32_e32 v26, v20
	v_mov_b32_e32 v28, v22
	;; [unrolled: 1-line block ×3, first 2 shown]
	s_branch .LBB21_41
.LBB21_40:                              ;   in Loop: Header=BB21_41 Depth=5
	s_or_b64 exec, exec, s[10:11]
	v_add_co_u32_e32 v30, vcc, 1, v30
	v_addc_co_u32_e32 v31, vcc, 0, v31, vcc
	v_cmp_ge_i64_e32 vcc, v[30:31], v[10:11]
	v_add_co_u32_e64 v28, s[10:11], 8, v28
	s_or_b64 s[64:65], vcc, s[64:65]
	v_add_co_u32_e32 v26, vcc, 4, v26
	v_addc_co_u32_e64 v29, s[10:11], 0, v29, s[10:11]
	v_addc_co_u32_e32 v27, vcc, 0, v27, vcc
	s_andn2_b64 exec, exec, s[64:65]
	s_cbranch_execz .LBB21_36
.LBB21_41:                              ;   Parent Loop BB21_3 Depth=1
                                        ;     Parent Loop BB21_30 Depth=2
                                        ;       Parent Loop BB21_34 Depth=3
                                        ;         Parent Loop BB21_38 Depth=4
                                        ; =>        This Inner Loop Header: Depth=5
	global_load_dwordx2 v[34:35], v[28:29], off
	s_waitcnt vmcnt(0)
	v_cmp_eq_u64_e32 vcc, v[34:35], v[0:1]
	s_and_saveexec_b64 s[10:11], vcc
	s_cbranch_execz .LBB21_40
; %bb.42:                               ;   in Loop: Header=BB21_41 Depth=5
	global_load_dword v34, v[26:27], off
	s_waitcnt vmcnt(0)
	v_add_f32_e32 v33, v33, v34
	s_branch .LBB21_40
.LBB21_43:
	s_endpgm
	.section	.rodata,"a",@progbits
	.p2align	6, 0x0
	.amdhsa_kernel _ZN2at6native12_GLOBAL__N_122max_pool_backward_nchwIfflEEvPKT_PKlT1_S8_S8_S8_S8_S8_iiiiiiiiPS3_
		.amdhsa_group_segment_fixed_size 0
		.amdhsa_private_segment_fixed_size 0
		.amdhsa_kernarg_size 360
		.amdhsa_user_sgpr_count 6
		.amdhsa_user_sgpr_private_segment_buffer 1
		.amdhsa_user_sgpr_dispatch_ptr 0
		.amdhsa_user_sgpr_queue_ptr 0
		.amdhsa_user_sgpr_kernarg_segment_ptr 1
		.amdhsa_user_sgpr_dispatch_id 0
		.amdhsa_user_sgpr_flat_scratch_init 0
		.amdhsa_user_sgpr_private_segment_size 0
		.amdhsa_uses_dynamic_stack 0
		.amdhsa_system_sgpr_private_segment_wavefront_offset 0
		.amdhsa_system_sgpr_workgroup_id_x 1
		.amdhsa_system_sgpr_workgroup_id_y 1
		.amdhsa_system_sgpr_workgroup_id_z 1
		.amdhsa_system_sgpr_workgroup_info 0
		.amdhsa_system_vgpr_workitem_id 0
		.amdhsa_next_free_vgpr 36
		.amdhsa_next_free_sgpr 88
		.amdhsa_reserve_vcc 1
		.amdhsa_reserve_flat_scratch 0
		.amdhsa_float_round_mode_32 0
		.amdhsa_float_round_mode_16_64 0
		.amdhsa_float_denorm_mode_32 3
		.amdhsa_float_denorm_mode_16_64 3
		.amdhsa_dx10_clamp 1
		.amdhsa_ieee_mode 1
		.amdhsa_fp16_overflow 0
		.amdhsa_exception_fp_ieee_invalid_op 0
		.amdhsa_exception_fp_denorm_src 0
		.amdhsa_exception_fp_ieee_div_zero 0
		.amdhsa_exception_fp_ieee_overflow 0
		.amdhsa_exception_fp_ieee_underflow 0
		.amdhsa_exception_fp_ieee_inexact 0
		.amdhsa_exception_int_div_zero 0
	.end_amdhsa_kernel
	.section	.text._ZN2at6native12_GLOBAL__N_122max_pool_backward_nchwIfflEEvPKT_PKlT1_S8_S8_S8_S8_S8_iiiiiiiiPS3_,"axG",@progbits,_ZN2at6native12_GLOBAL__N_122max_pool_backward_nchwIfflEEvPKT_PKlT1_S8_S8_S8_S8_S8_iiiiiiiiPS3_,comdat
.Lfunc_end21:
	.size	_ZN2at6native12_GLOBAL__N_122max_pool_backward_nchwIfflEEvPKT_PKlT1_S8_S8_S8_S8_S8_iiiiiiiiPS3_, .Lfunc_end21-_ZN2at6native12_GLOBAL__N_122max_pool_backward_nchwIfflEEvPKT_PKlT1_S8_S8_S8_S8_S8_iiiiiiiiPS3_
                                        ; -- End function
	.set _ZN2at6native12_GLOBAL__N_122max_pool_backward_nchwIfflEEvPKT_PKlT1_S8_S8_S8_S8_S8_iiiiiiiiPS3_.num_vgpr, 36
	.set _ZN2at6native12_GLOBAL__N_122max_pool_backward_nchwIfflEEvPKT_PKlT1_S8_S8_S8_S8_S8_iiiiiiiiPS3_.num_agpr, 0
	.set _ZN2at6native12_GLOBAL__N_122max_pool_backward_nchwIfflEEvPKT_PKlT1_S8_S8_S8_S8_S8_iiiiiiiiPS3_.numbered_sgpr, 88
	.set _ZN2at6native12_GLOBAL__N_122max_pool_backward_nchwIfflEEvPKT_PKlT1_S8_S8_S8_S8_S8_iiiiiiiiPS3_.num_named_barrier, 0
	.set _ZN2at6native12_GLOBAL__N_122max_pool_backward_nchwIfflEEvPKT_PKlT1_S8_S8_S8_S8_S8_iiiiiiiiPS3_.private_seg_size, 0
	.set _ZN2at6native12_GLOBAL__N_122max_pool_backward_nchwIfflEEvPKT_PKlT1_S8_S8_S8_S8_S8_iiiiiiiiPS3_.uses_vcc, 1
	.set _ZN2at6native12_GLOBAL__N_122max_pool_backward_nchwIfflEEvPKT_PKlT1_S8_S8_S8_S8_S8_iiiiiiiiPS3_.uses_flat_scratch, 0
	.set _ZN2at6native12_GLOBAL__N_122max_pool_backward_nchwIfflEEvPKT_PKlT1_S8_S8_S8_S8_S8_iiiiiiiiPS3_.has_dyn_sized_stack, 0
	.set _ZN2at6native12_GLOBAL__N_122max_pool_backward_nchwIfflEEvPKT_PKlT1_S8_S8_S8_S8_S8_iiiiiiiiPS3_.has_recursion, 0
	.set _ZN2at6native12_GLOBAL__N_122max_pool_backward_nchwIfflEEvPKT_PKlT1_S8_S8_S8_S8_S8_iiiiiiiiPS3_.has_indirect_call, 0
	.section	.AMDGPU.csdata,"",@progbits
; Kernel info:
; codeLenInByte = 5000
; TotalNumSgprs: 92
; NumVgprs: 36
; ScratchSize: 0
; MemoryBound: 0
; FloatMode: 240
; IeeeMode: 1
; LDSByteSize: 0 bytes/workgroup (compile time only)
; SGPRBlocks: 11
; VGPRBlocks: 8
; NumSGPRsForWavesPerEU: 92
; NumVGPRsForWavesPerEU: 36
; Occupancy: 7
; WaveLimiterHint : 0
; COMPUTE_PGM_RSRC2:SCRATCH_EN: 0
; COMPUTE_PGM_RSRC2:USER_SGPR: 6
; COMPUTE_PGM_RSRC2:TRAP_HANDLER: 0
; COMPUTE_PGM_RSRC2:TGID_X_EN: 1
; COMPUTE_PGM_RSRC2:TGID_Y_EN: 1
; COMPUTE_PGM_RSRC2:TGID_Z_EN: 1
; COMPUTE_PGM_RSRC2:TIDIG_COMP_CNT: 0
	.section	.text._ZN2at6native12_GLOBAL__N_122max_pool_backward_nhwcIN3c104HalfEfEEvPKT_PKlillliiiiiiiiiiiiiiiPS5_,"axG",@progbits,_ZN2at6native12_GLOBAL__N_122max_pool_backward_nhwcIN3c104HalfEfEEvPKT_PKlillliiiiiiiiiiiiiiiPS5_,comdat
	.globl	_ZN2at6native12_GLOBAL__N_122max_pool_backward_nhwcIN3c104HalfEfEEvPKT_PKlillliiiiiiiiiiiiiiiPS5_ ; -- Begin function _ZN2at6native12_GLOBAL__N_122max_pool_backward_nhwcIN3c104HalfEfEEvPKT_PKlillliiiiiiiiiiiiiiiPS5_
	.p2align	8
	.type	_ZN2at6native12_GLOBAL__N_122max_pool_backward_nhwcIN3c104HalfEfEEvPKT_PKlillliiiiiiiiiiiiiiiPS5_,@function
_ZN2at6native12_GLOBAL__N_122max_pool_backward_nhwcIN3c104HalfEfEEvPKT_PKlillliiiiiiiiiiiiiiiPS5_: ; @_ZN2at6native12_GLOBAL__N_122max_pool_backward_nhwcIN3c104HalfEfEEvPKT_PKlillliiiiiiiiiiiiiiiPS5_
; %bb.0:
	s_load_dword s40, s[4:5], 0x10
	s_load_dwordx4 s[0:3], s[4:5], 0x7c
	s_load_dwordx8 s[12:19], s[4:5], 0x30
	s_load_dwordx8 s[20:27], s[4:5], 0x50
	s_waitcnt lgkmcnt(0)
	v_cvt_f32_u32_e32 v3, s40
	s_lshr_b32 s56, s2, 16
	s_and_b32 s9, s2, 0xffff
	v_mad_u32_u24 v5, v2, s56, v1
	v_rcp_iflag_f32_e32 v3, v3
	s_and_b32 s33, s3, 0xffff
	v_mul_f32_e32 v3, 0x4f7ffffe, v3
	v_cvt_u32_f32_e32 v6, v3
	v_mad_u64_u32 v[3:4], s[2:3], v5, s9, v[0:1]
	s_sub_i32 s2, 0, s40
	v_readfirstlane_b32 s3, v6
	s_mul_i32 s2, s2, s3
	s_mul_hi_u32 s2, s3, s2
	s_add_i32 s3, s3, s2
	s_mul_i32 s2, s26, s9
	s_mul_i32 s28, s2, s56
	;; [unrolled: 1-line block ×3, first 2 shown]
	s_mul_hi_u32 s27, s6, s3
	v_cmp_gt_u32_e32 vcc, s28, v3
	s_and_saveexec_b64 s[2:3], vcc
	s_cbranch_execz .LBB22_3
; %bb.1:
	s_mul_i32 s29, s56, s9
	s_mul_i32 s29, s29, s33
	v_lshl_add_u32 v4, v3, 2, 0
	s_lshl_b32 s30, s29, 2
	s_mov_b64 s[10:11], 0
	v_mov_b32_e32 v6, 0
.LBB22_2:                               ; =>This Inner Loop Header: Depth=1
	v_add_u32_e32 v3, s29, v3
	v_cmp_le_u32_e32 vcc, s28, v3
	ds_write_b32 v4, v6
	s_or_b64 s[10:11], vcc, s[10:11]
	v_add_u32_e32 v4, s30, v4
	s_andn2_b64 exec, exec, s[10:11]
	s_cbranch_execnz .LBB22_2
.LBB22_3:
	s_or_b64 exec, exec, s[2:3]
	s_load_dwordx4 s[28:31], s[4:5], 0x18
	s_load_dwordx2 s[10:11], s[4:5], 0x28
	s_mov_b32 s38, s1
	s_mov_b32 s36, 0
	s_mov_b64 s[34:35], -1
	s_waitcnt lgkmcnt(0)
	s_add_u32 s1, s30, s1
	s_addc_u32 s2, s31, 0
	s_add_u32 s1, s1, -1
	s_addc_u32 s37, s2, -1
	s_cmp_lg_u64 s[36:37], 0
	s_barrier
	s_cbranch_scc0 .LBB22_60
; %bb.4:
	s_add_u32 s2, s38, 0
	s_addc_u32 s3, 0, 0
	s_xor_b64 s[2:3], s[2:3], 0
	v_cvt_f32_u32_e32 v3, s2
	v_cvt_f32_u32_e32 v4, s3
	s_sub_u32 s36, 0, s2
	s_subb_u32 s39, 0, s3
	v_madmk_f32 v3, v4, 0x4f800000, v3
	v_rcp_f32_e32 v3, v3
	v_mul_f32_e32 v3, 0x5f7ffffc, v3
	v_mul_f32_e32 v4, 0x2f800000, v3
	v_trunc_f32_e32 v4, v4
	v_madmk_f32 v3, v4, 0xcf800000, v3
	v_cvt_u32_f32_e32 v4, v4
	v_cvt_u32_f32_e32 v3, v3
	v_readfirstlane_b32 s41, v4
	v_readfirstlane_b32 s42, v3
	s_mul_i32 s43, s36, s41
	s_mul_hi_u32 s45, s36, s42
	s_mul_i32 s44, s39, s42
	s_add_i32 s43, s45, s43
	s_add_i32 s43, s43, s44
	s_mul_i32 s46, s36, s42
	s_mul_i32 s45, s42, s43
	s_mul_hi_u32 s47, s42, s46
	s_mul_hi_u32 s44, s42, s43
	s_add_u32 s45, s47, s45
	s_addc_u32 s44, 0, s44
	s_mul_hi_u32 s48, s41, s46
	s_mul_i32 s46, s41, s46
	s_add_u32 s45, s45, s46
	s_mul_hi_u32 s47, s41, s43
	s_addc_u32 s44, s44, s48
	s_addc_u32 s45, s47, 0
	s_mul_i32 s43, s41, s43
	s_add_u32 s43, s44, s43
	s_addc_u32 s44, 0, s45
	s_add_u32 s45, s42, s43
	s_cselect_b64 s[42:43], -1, 0
	s_cmp_lg_u64 s[42:43], 0
	s_addc_u32 s41, s41, s44
	s_mul_i32 s42, s36, s41
	s_mul_hi_u32 s43, s36, s45
	s_add_i32 s42, s43, s42
	s_mul_i32 s39, s39, s45
	s_add_i32 s42, s42, s39
	s_mul_i32 s36, s36, s45
	s_mul_hi_u32 s43, s41, s36
	s_mul_i32 s44, s41, s36
	s_mul_i32 s47, s45, s42
	s_mul_hi_u32 s36, s45, s36
	s_mul_hi_u32 s46, s45, s42
	s_add_u32 s36, s36, s47
	s_addc_u32 s46, 0, s46
	s_add_u32 s36, s36, s44
	s_mul_hi_u32 s39, s41, s42
	s_addc_u32 s36, s46, s43
	s_addc_u32 s39, s39, 0
	s_mul_i32 s42, s41, s42
	s_add_u32 s36, s36, s42
	s_addc_u32 s39, 0, s39
	s_add_u32 s44, s45, s36
	s_cselect_b64 s[42:43], -1, 0
	s_cmp_lg_u64 s[42:43], 0
	s_addc_u32 s39, s41, s39
	s_ashr_i32 s42, s37, 31
	s_add_u32 s36, s1, s42
	s_mov_b32 s43, s42
	s_addc_u32 s37, s37, s42
	s_xor_b64 s[36:37], s[36:37], s[42:43]
	s_mul_i32 s45, s36, s39
	s_mul_hi_u32 s46, s36, s44
	s_mul_hi_u32 s41, s36, s39
	s_add_u32 s45, s46, s45
	s_addc_u32 s41, 0, s41
	s_mul_hi_u32 s47, s37, s44
	s_mul_i32 s44, s37, s44
	s_add_u32 s44, s45, s44
	s_mul_hi_u32 s46, s37, s39
	s_addc_u32 s41, s41, s47
	s_addc_u32 s44, s46, 0
	s_mul_i32 s39, s37, s39
	s_add_u32 s39, s41, s39
	s_addc_u32 s41, 0, s44
	s_mul_i32 s44, s2, s41
	s_mul_hi_u32 s45, s2, s39
	s_add_i32 s44, s45, s44
	s_mul_i32 s45, s3, s39
	s_add_i32 s48, s44, s45
	s_sub_i32 s46, s37, s48
	s_mul_i32 s44, s2, s39
	s_sub_u32 s36, s36, s44
	s_cselect_b64 s[44:45], -1, 0
	s_cmp_lg_u64 s[44:45], 0
	s_subb_u32 s49, s46, s3
	s_sub_u32 s50, s36, s2
	s_cselect_b64 s[46:47], -1, 0
	s_cmp_lg_u64 s[46:47], 0
	s_subb_u32 s46, s49, 0
	s_cmp_ge_u32 s46, s3
	s_cselect_b32 s47, -1, 0
	s_cmp_ge_u32 s50, s2
	s_cselect_b32 s49, -1, 0
	s_cmp_eq_u32 s46, s3
	s_cselect_b32 s46, s49, s47
	s_add_u32 s47, s39, 1
	s_addc_u32 s49, s41, 0
	s_add_u32 s50, s39, 2
	s_addc_u32 s51, s41, 0
	s_cmp_lg_u32 s46, 0
	s_cselect_b32 s46, s50, s47
	s_cselect_b32 s47, s51, s49
	s_cmp_lg_u64 s[44:45], 0
	s_subb_u32 s37, s37, s48
	s_cmp_ge_u32 s37, s3
	s_cselect_b32 s44, -1, 0
	s_cmp_ge_u32 s36, s2
	s_cselect_b32 s2, -1, 0
	s_cmp_eq_u32 s37, s3
	s_cselect_b32 s2, s2, s44
	s_cmp_lg_u32 s2, 0
	s_cselect_b32 s3, s47, s41
	s_cselect_b32 s2, s46, s39
	s_xor_b64 s[36:37], s[42:43], 0
	s_xor_b64 s[2:3], s[2:3], s[36:37]
	s_sub_u32 s2, s2, s36
	s_subb_u32 s3, s3, s37
	s_cbranch_execnz .LBB22_6
.LBB22_5:
	v_cvt_f32_u32_e32 v3, s38
	s_sub_i32 s2, 0, s38
	s_mov_b32 s3, 0
	v_rcp_iflag_f32_e32 v3, v3
	v_mul_f32_e32 v3, 0x4f7ffffe, v3
	v_cvt_u32_f32_e32 v3, v3
	v_readfirstlane_b32 s34, v3
	s_mul_i32 s2, s2, s34
	s_mul_hi_u32 s2, s34, s2
	s_add_i32 s34, s34, s2
	s_mul_hi_u32 s2, s1, s34
	s_mul_i32 s35, s2, s38
	s_sub_i32 s1, s1, s35
	s_add_i32 s34, s2, 1
	s_sub_i32 s35, s1, s38
	s_cmp_ge_u32 s1, s38
	s_cselect_b32 s2, s34, s2
	s_cselect_b32 s1, s35, s1
	s_add_i32 s34, s2, 1
	s_cmp_ge_u32 s1, s38
	s_cselect_b32 s2, s34, s2
.LBB22_6:
	s_add_u32 s1, s10, s0
	s_addc_u32 s34, s11, 0
	s_add_u32 s1, s1, -1
	s_mov_b32 s38, 0
	s_addc_u32 s39, s34, -1
	s_cmp_lg_u64 s[38:39], 0
	s_mov_b64 s[34:35], -1
	s_cbranch_scc0 .LBB22_61
; %bb.7:
	s_add_u32 s34, s0, 0
	s_addc_u32 s35, 0, 0
	s_xor_b64 s[36:37], s[34:35], 0
	v_cvt_f32_u32_e32 v3, s36
	v_cvt_f32_u32_e32 v4, s37
	s_sub_u32 s38, 0, s36
	s_subb_u32 s41, 0, s37
	v_madmk_f32 v3, v4, 0x4f800000, v3
	v_rcp_f32_e32 v3, v3
	v_mul_f32_e32 v3, 0x5f7ffffc, v3
	v_mul_f32_e32 v4, 0x2f800000, v3
	v_trunc_f32_e32 v4, v4
	v_madmk_f32 v3, v4, 0xcf800000, v3
	v_cvt_u32_f32_e32 v4, v4
	v_cvt_u32_f32_e32 v3, v3
	v_readfirstlane_b32 s44, v4
	v_readfirstlane_b32 s42, v3
	s_mul_i32 s43, s38, s44
	s_mul_hi_u32 s46, s38, s42
	s_mul_i32 s45, s41, s42
	s_add_i32 s43, s46, s43
	s_add_i32 s43, s43, s45
	s_mul_i32 s47, s38, s42
	s_mul_i32 s46, s42, s43
	s_mul_hi_u32 s48, s42, s47
	s_mul_hi_u32 s45, s42, s43
	s_add_u32 s46, s48, s46
	s_addc_u32 s45, 0, s45
	s_mul_hi_u32 s49, s44, s47
	s_mul_i32 s47, s44, s47
	s_add_u32 s46, s46, s47
	s_mul_hi_u32 s48, s44, s43
	s_addc_u32 s45, s45, s49
	s_addc_u32 s46, s48, 0
	s_mul_i32 s43, s44, s43
	s_add_u32 s43, s45, s43
	s_addc_u32 s45, 0, s46
	s_add_u32 s46, s42, s43
	s_cselect_b64 s[42:43], -1, 0
	s_cmp_lg_u64 s[42:43], 0
	s_addc_u32 s44, s44, s45
	s_mul_i32 s42, s38, s44
	s_mul_hi_u32 s43, s38, s46
	s_add_i32 s42, s43, s42
	s_mul_i32 s41, s41, s46
	s_add_i32 s42, s42, s41
	s_mul_i32 s38, s38, s46
	s_mul_hi_u32 s43, s44, s38
	s_mul_i32 s45, s44, s38
	s_mul_i32 s48, s46, s42
	s_mul_hi_u32 s38, s46, s38
	s_mul_hi_u32 s47, s46, s42
	s_add_u32 s38, s38, s48
	s_addc_u32 s47, 0, s47
	s_add_u32 s38, s38, s45
	s_mul_hi_u32 s41, s44, s42
	s_addc_u32 s38, s47, s43
	s_addc_u32 s41, s41, 0
	s_mul_i32 s42, s44, s42
	s_add_u32 s38, s38, s42
	s_addc_u32 s41, 0, s41
	s_add_u32 s45, s46, s38
	s_cselect_b64 s[42:43], -1, 0
	s_cmp_lg_u64 s[42:43], 0
	s_addc_u32 s41, s44, s41
	s_ashr_i32 s42, s39, 31
	s_add_u32 s38, s1, s42
	s_mov_b32 s43, s42
	s_addc_u32 s39, s39, s42
	s_xor_b64 s[38:39], s[38:39], s[42:43]
	s_mul_i32 s46, s38, s41
	s_mul_hi_u32 s47, s38, s45
	s_mul_hi_u32 s44, s38, s41
	s_add_u32 s46, s47, s46
	s_addc_u32 s44, 0, s44
	s_mul_hi_u32 s48, s39, s45
	s_mul_i32 s45, s39, s45
	s_add_u32 s45, s46, s45
	s_mul_hi_u32 s47, s39, s41
	s_addc_u32 s44, s44, s48
	s_addc_u32 s45, s47, 0
	s_mul_i32 s41, s39, s41
	s_add_u32 s41, s44, s41
	s_addc_u32 s48, 0, s45
	s_mul_i32 s44, s36, s48
	s_mul_hi_u32 s45, s36, s41
	s_add_i32 s44, s45, s44
	s_mul_i32 s45, s37, s41
	s_add_i32 s49, s44, s45
	s_sub_i32 s46, s39, s49
	s_mul_i32 s44, s36, s41
	s_sub_u32 s38, s38, s44
	s_cselect_b64 s[44:45], -1, 0
	s_cmp_lg_u64 s[44:45], 0
	s_subb_u32 s50, s46, s37
	s_sub_u32 s51, s38, s36
	s_cselect_b64 s[46:47], -1, 0
	s_cmp_lg_u64 s[46:47], 0
	s_subb_u32 s46, s50, 0
	s_cmp_ge_u32 s46, s37
	s_cselect_b32 s47, -1, 0
	s_cmp_ge_u32 s51, s36
	s_cselect_b32 s50, -1, 0
	s_cmp_eq_u32 s46, s37
	s_cselect_b32 s46, s50, s47
	s_add_u32 s47, s41, 1
	s_addc_u32 s50, s48, 0
	s_add_u32 s51, s41, 2
	s_addc_u32 s52, s48, 0
	s_cmp_lg_u32 s46, 0
	s_cselect_b32 s46, s51, s47
	s_cselect_b32 s47, s52, s50
	s_cmp_lg_u64 s[44:45], 0
	s_subb_u32 s39, s39, s49
	s_cmp_ge_u32 s39, s37
	s_cselect_b32 s44, -1, 0
	s_cmp_ge_u32 s38, s36
	s_cselect_b32 s36, -1, 0
	s_cmp_eq_u32 s39, s37
	s_cselect_b32 s36, s36, s44
	s_cmp_lg_u32 s36, 0
	s_cselect_b32 s37, s47, s48
	s_cselect_b32 s36, s46, s41
	s_xor_b64 s[38:39], s[42:43], 0
	s_xor_b64 s[36:37], s[36:37], s[38:39]
	s_sub_u32 s36, s36, s38
	s_subb_u32 s37, s37, s39
	s_cbranch_execnz .LBB22_9
.LBB22_8:
	v_cvt_f32_u32_e32 v3, s0
	s_sub_i32 s34, 0, s0
	s_mov_b32 s37, 0
	v_rcp_iflag_f32_e32 v3, v3
	v_mul_f32_e32 v3, 0x4f7ffffe, v3
	v_cvt_u32_f32_e32 v3, v3
	v_readfirstlane_b32 s35, v3
	s_mul_i32 s34, s34, s35
	s_mul_hi_u32 s34, s35, s34
	s_add_i32 s35, s35, s34
	s_mul_hi_u32 s34, s1, s35
	s_mul_i32 s36, s34, s0
	s_sub_i32 s1, s1, s36
	s_add_i32 s35, s34, 1
	s_sub_i32 s36, s1, s0
	s_cmp_ge_u32 s1, s0
	s_cselect_b32 s34, s35, s34
	s_cselect_b32 s1, s36, s1
	s_add_i32 s35, s34, 1
	s_cmp_ge_u32 s1, s0
	s_cselect_b32 s36, s35, s34
.LBB22_9:
	s_mul_i32 s8, s8, s2
	v_add_u32_e32 v17, s8, v2
	s_bfe_i64 s[0:1], s[2:3], 0x200000
	v_ashrrev_i32_e32 v3, 31, v17
	v_mov_b32_e32 v4, s1
	v_add_co_u32_e32 v2, vcc, s0, v17
	v_addc_co_u32_e32 v3, vcc, v4, v3, vcc
	v_cmp_gt_i64_e32 vcc, s[30:31], v[2:3]
	v_mov_b32_e32 v4, s30
	v_cndmask_b32_e32 v18, v4, v2, vcc
	v_cmp_lt_i32_e32 vcc, v17, v18
	s_and_saveexec_b64 s[0:1], vcc
	s_cbranch_execz .LBB22_59
; %bb.10:
	s_mul_i32 s7, s7, s36
	v_add_u32_e32 v19, s7, v1
	s_bfe_i64 s[0:1], s[36:37], 0x200000
	v_mov_b32_e32 v3, s1
	v_add_co_u32_e32 v1, vcc, s0, v19
	s_load_dwordx4 s[0:3], s[4:5], 0x0
	s_load_dwordx2 s[34:35], s[4:5], 0x70
	s_mul_i32 s4, s27, s40
	s_sub_i32 s4, s6, s4
	s_add_i32 s5, s27, 1
	s_sub_i32 s7, s4, s40
	s_cmp_ge_u32 s4, s40
	s_cselect_b32 s5, s5, s27
	s_cselect_b32 s4, s7, s4
	s_add_i32 s7, s5, 1
	s_cmp_ge_u32 s4, s40
	s_cselect_b32 s8, s7, s5
	s_mul_i32 s5, s30, s29
	s_mul_hi_u32 s7, s30, s28
	v_ashrrev_i32_e32 v2, 31, v19
	s_add_i32 s5, s7, s5
	s_mul_i32 s7, s31, s28
	v_addc_co_u32_e32 v2, vcc, v3, v2, vcc
	s_mul_i32 s4, s8, s40
	s_add_i32 s5, s5, s7
	s_mul_i32 s7, s30, s28
	v_cmp_gt_i64_e32 vcc, s[10:11], v[1:2]
	s_sub_i32 s6, s6, s4
	s_mul_i32 s11, s7, s11
	s_mul_hi_u32 s27, s7, s10
	s_ashr_i32 s4, s6, 31
	s_add_i32 s11, s27, s11
	s_mul_i32 s5, s5, s10
	s_mul_i32 s7, s7, s10
	s_add_i32 s5, s11, s5
	s_mul_i32 s4, s7, s4
	s_mul_hi_u32 s11, s7, s6
	s_mul_i32 s5, s5, s6
	s_add_i32 s4, s11, s4
	s_add_i32 s5, s4, s5
	s_mul_i32 s4, s7, s6
	s_lshl_b64 s[4:5], s[4:5], 1
	s_waitcnt lgkmcnt(0)
	s_add_u32 s11, s34, s4
	s_mul_i32 s4, s13, s12
	s_mul_i32 s4, s4, s6
	s_addc_u32 s57, s35, s5
	s_ashr_i32 s5, s4, 31
	s_mul_i32 s5, s28, s5
	s_mul_hi_u32 s6, s28, s4
	s_add_i32 s5, s6, s5
	s_mul_i32 s6, s29, s4
	s_add_i32 s5, s5, s6
	s_mul_i32 s4, s28, s4
	s_lshl_b64 s[6:7], s[4:5], 3
	s_add_u32 s58, s2, s6
	s_addc_u32 s59, s3, s7
	s_lshl_b64 s[2:3], s[4:5], 1
	s_add_u32 s60, s0, s2
	s_addc_u32 s61, s1, s3
	s_abs_i32 s64, s16
	v_cvt_f32_u32_e32 v2, s64
	v_mov_b32_e32 v3, s10
	s_abs_i32 s66, s17
	v_cndmask_b32_e32 v20, v3, v1, vcc
	v_rcp_iflag_f32_e32 v2, v2
	v_cvt_f32_u32_e32 v3, s66
	s_mul_i32 s0, s8, s9
	v_add_u32_e32 v1, s0, v0
	v_mul_f32_e32 v2, 0x4f7ffffe, v2
	v_rcp_iflag_f32_e32 v3, v3
	v_cvt_u32_f32_e32 v4, v2
	s_add_i32 s0, s14, -1
	s_mul_i32 s62, s20, s0
	s_add_i32 s0, s15, -1
	s_mul_i32 s65, s21, s0
	s_sub_i32 s0, 0, s64
	v_mul_f32_e32 v3, 0x4f7ffffe, v3
	v_mul_lo_u32 v6, s0, v4
	v_cvt_u32_f32_e32 v3, v3
	s_sub_i32 s2, 0, s66
	v_mul_lo_u32 v5, s26, v5
	v_mul_hi_u32 v6, v4, v6
	v_mul_lo_u32 v7, s2, v3
	v_mul_lo_u32 v24, s22, v1
	s_add_i32 s2, s8, s25
	v_add_u32_e32 v21, v4, v6
	v_mul_hi_u32 v4, v3, v7
	v_ashrrev_i32_e32 v2, 31, v1
	s_mul_i32 s2, s2, s9
	v_cmp_gt_i64_e64 s[0:1], s[28:29], v[1:2]
	v_add_u32_e32 v23, v3, v4
	v_mul_lo_u32 v3, v5, s9
	s_mul_i32 s68, s25, s9
	v_add_u32_e32 v25, s2, v0
	v_lshlrev_b32_e32 v0, 2, v0
	v_lshlrev_b32_e32 v3, 2, v3
	s_not_b32 s63, s62
	v_cmp_lt_i32_e32 vcc, v19, v20
	s_not_b32 s67, s65
	s_ashr_i32 s69, s16, 31
	v_mov_b32_e32 v22, 0
	s_ashr_i32 s70, s17, 31
	s_mul_i32 s22, s68, s22
	v_add3_u32 v0, v3, v0, 0
	s_lshl_b32 s25, s9, 2
	s_mov_b64 s[14:15], 0
                                        ; implicit-def: $vgpr26
                                        ; implicit-def: $vgpr27
                                        ; implicit-def: $vgpr28
                                        ; implicit-def: $vgpr29
	s_branch .LBB22_13
.LBB22_11:                              ;   in Loop: Header=BB22_13 Depth=1
	s_or_b64 exec, exec, s[20:21]
.LBB22_12:                              ;   in Loop: Header=BB22_13 Depth=1
	s_or_b64 exec, exec, s[16:17]
	v_add_u32_e32 v17, s33, v17
	v_cmp_ge_i32_e64 s[2:3], v17, v18
	s_or_b64 s[14:15], s[2:3], s[14:15]
	s_andn2_b64 exec, exec, s[14:15]
	s_cbranch_execz .LBB22_59
.LBB22_13:                              ; =>This Loop Header: Depth=1
                                        ;     Child Loop BB22_19 Depth 2
                                        ;       Child Loop BB22_28 Depth 3
                                        ;         Child Loop BB22_31 Depth 4
                                        ;           Child Loop BB22_34 Depth 5
                                        ;       Child Loop BB22_40 Depth 3
                                        ;       Child Loop BB22_51 Depth 3
                                        ;       Child Loop BB22_57 Depth 3
	v_add_u32_e32 v3, s18, v17
	v_cmp_lt_i32_e64 s[2:3], s62, v3
	v_mov_b32_e32 v30, 0
	s_and_saveexec_b64 s[4:5], s[2:3]
	s_cbranch_execz .LBB22_15
; %bb.14:                               ;   in Loop: Header=BB22_13 Depth=1
	v_add_u32_e32 v4, s63, v3
	v_sub_u32_e32 v5, 0, v4
	v_max_i32_e32 v5, v4, v5
	v_mul_hi_u32 v6, v5, v21
	v_ashrrev_i32_e32 v4, 31, v4
	v_xor_b32_e32 v4, s69, v4
	v_mul_lo_u32 v7, v6, s64
	v_add_u32_e32 v8, 1, v6
	v_sub_u32_e32 v5, v5, v7
	v_cmp_le_u32_e64 s[2:3], s64, v5
	v_subrev_u32_e32 v7, s64, v5
	v_cndmask_b32_e64 v6, v6, v8, s[2:3]
	v_cndmask_b32_e64 v5, v5, v7, s[2:3]
	v_add_u32_e32 v7, 1, v6
	v_cmp_le_u32_e64 s[2:3], s64, v5
	v_cndmask_b32_e64 v5, v6, v7, s[2:3]
	v_xor_b32_e32 v5, v5, v4
	v_sub_u32_e32 v4, v5, v4
	v_add_u32_e32 v30, 1, v4
.LBB22_15:                              ;   in Loop: Header=BB22_13 Depth=1
	s_or_b64 exec, exec, s[4:5]
	s_and_saveexec_b64 s[16:17], vcc
	s_cbranch_execz .LBB22_12
; %bb.16:                               ;   in Loop: Header=BB22_13 Depth=1
	v_sub_u32_e32 v4, 0, v3
	v_max_i32_e32 v4, v3, v4
	v_mul_hi_u32 v5, v4, v21
	v_ashrrev_i32_e32 v3, 31, v3
	v_xor_b32_e32 v3, s69, v3
	v_add_u32_e32 v8, 1, v30
	v_mul_lo_u32 v6, v5, s64
	v_add_u32_e32 v7, 1, v5
	v_mul_lo_u32 v32, v17, s10
	v_mul_lo_u32 v35, s23, v8
	v_sub_u32_e32 v4, v4, v6
	v_cmp_le_u32_e64 s[2:3], s64, v4
	v_subrev_u32_e32 v6, s64, v4
	v_cndmask_b32_e64 v5, v5, v7, s[2:3]
	v_cndmask_b32_e64 v4, v4, v6, s[2:3]
	v_add_u32_e32 v6, 1, v5
	v_cmp_le_u32_e64 s[2:3], s64, v4
	v_cndmask_b32_e64 v4, v5, v6, s[2:3]
	v_xor_b32_e32 v4, v4, v3
	v_sub_u32_e32 v3, v4, v3
	v_add_u32_e32 v3, 1, v3
	v_min_i32_e32 v31, s12, v3
	v_mul_lo_u32 v3, v30, s23
	v_sub_u32_e32 v4, v31, v30
	v_cmp_gt_i32_e64 s[8:9], 3, v4
	v_mov_b32_e32 v6, s59
	v_ashrrev_i32_e32 v4, 31, v3
	v_lshlrev_b64 v[4:5], 3, v[3:4]
	v_cmp_eq_u32_e64 s[6:7], v8, v31
	v_add_co_u32_e64 v33, s[4:5], s58, v4
	v_addc_co_u32_e64 v34, s[4:5], v6, v5, s[4:5]
	v_add_u32_e32 v6, s23, v3
	v_ashrrev_i32_e32 v7, 31, v6
	v_lshlrev_b64 v[6:7], 3, v[6:7]
	v_cmp_gt_i32_e64 s[2:3], v31, v30
	v_cmp_lt_i32_e64 s[4:5], v8, v31
	s_mov_b64 s[20:21], 0
	s_xor_b64 s[26:27], s[6:7], -1
	s_xor_b64 s[30:31], s[8:9], -1
	v_mov_b32_e32 v36, v19
	s_branch .LBB22_19
.LBB22_17:                              ;   in Loop: Header=BB22_19 Depth=2
	s_or_b64 exec, exec, s[34:35]
.LBB22_18:                              ;   in Loop: Header=BB22_19 Depth=2
	s_or_b64 exec, exec, s[8:9]
	v_add_u32_e32 v36, s56, v36
	v_cmp_ge_i32_e64 s[6:7], v36, v20
	s_or_b64 s[20:21], s[6:7], s[20:21]
	s_andn2_b64 exec, exec, s[20:21]
	s_cbranch_execz .LBB22_11
.LBB22_19:                              ;   Parent Loop BB22_13 Depth=1
                                        ; =>  This Loop Header: Depth=2
                                        ;       Child Loop BB22_28 Depth 3
                                        ;         Child Loop BB22_31 Depth 4
                                        ;           Child Loop BB22_34 Depth 5
                                        ;       Child Loop BB22_40 Depth 3
                                        ;       Child Loop BB22_51 Depth 3
	;; [unrolled: 1-line block ×3, first 2 shown]
	v_add_u32_e32 v8, s19, v36
	v_cmp_lt_i32_e64 s[6:7], s65, v8
	v_mov_b32_e32 v15, 0
	s_and_saveexec_b64 s[8:9], s[6:7]
	s_cbranch_execz .LBB22_21
; %bb.20:                               ;   in Loop: Header=BB22_19 Depth=2
	v_add_u32_e32 v9, s67, v8
	v_sub_u32_e32 v10, 0, v9
	v_max_i32_e32 v10, v9, v10
	v_mul_hi_u32 v11, v10, v23
	v_ashrrev_i32_e32 v9, 31, v9
	v_xor_b32_e32 v9, s70, v9
	v_mul_lo_u32 v12, v11, s66
	v_add_u32_e32 v13, 1, v11
	v_sub_u32_e32 v10, v10, v12
	v_cmp_le_u32_e64 s[6:7], s66, v10
	v_subrev_u32_e32 v12, s66, v10
	v_cndmask_b32_e64 v11, v11, v13, s[6:7]
	v_cndmask_b32_e64 v10, v10, v12, s[6:7]
	v_add_u32_e32 v12, 1, v11
	v_cmp_le_u32_e64 s[6:7], s66, v10
	v_cndmask_b32_e64 v10, v11, v12, s[6:7]
	v_xor_b32_e32 v10, v10, v9
	v_sub_u32_e32 v9, v10, v9
	v_add_u32_e32 v15, 1, v9
.LBB22_21:                              ;   in Loop: Header=BB22_19 Depth=2
	s_or_b64 exec, exec, s[8:9]
	v_sub_u32_e32 v9, 0, v8
	v_max_i32_e32 v9, v8, v9
	v_mul_hi_u32 v10, v9, v23
	v_ashrrev_i32_e32 v8, 31, v8
	v_xor_b32_e32 v8, s70, v8
	v_mul_lo_u32 v11, v10, s66
	v_add_u32_e32 v12, 1, v10
	v_sub_u32_e32 v9, v9, v11
	v_cmp_le_u32_e64 s[6:7], s66, v9
	v_subrev_u32_e32 v11, s66, v9
	v_cndmask_b32_e64 v10, v10, v12, s[6:7]
	v_cndmask_b32_e64 v9, v9, v11, s[6:7]
	v_add_u32_e32 v11, 1, v10
	v_cmp_le_u32_e64 s[6:7], s66, v9
	v_cndmask_b32_e64 v9, v10, v11, s[6:7]
	v_xor_b32_e32 v9, v9, v8
	v_sub_u32_e32 v8, v9, v8
	v_add_u32_e32 v8, 1, v8
	v_min_i32_e32 v16, s13, v8
	v_add_u32_e32 v9, 1, v15
	v_cmp_ne_u32_e64 s[6:7], v9, v16
	v_add_u32_e32 v8, v36, v32
	s_or_b64 s[6:7], s[26:27], s[6:7]
	s_and_saveexec_b64 s[8:9], s[6:7]
	s_xor_b64 s[34:35], exec, s[8:9]
	s_cbranch_execz .LBB22_53
; %bb.22:                               ;   in Loop: Header=BB22_19 Depth=2
	v_sub_u32_e32 v10, v16, v15
	v_cmp_lt_i32_e64 s[6:7], 2, v10
	s_or_b64 s[6:7], s[30:31], s[6:7]
	s_and_saveexec_b64 s[8:9], s[6:7]
	s_xor_b64 s[36:37], exec, s[8:9]
	s_cbranch_execnz .LBB22_25
; %bb.23:                               ;   in Loop: Header=BB22_19 Depth=2
	s_andn2_saveexec_b64 s[36:37], s[36:37]
	s_cbranch_execnz .LBB22_37
.LBB22_24:                              ;   in Loop: Header=BB22_19 Depth=2
	s_or_b64 exec, exec, s[36:37]
	s_and_saveexec_b64 s[36:37], s[0:1]
	s_cbranch_execnz .LBB22_50
	s_branch .LBB22_52
.LBB22_25:                              ;   in Loop: Header=BB22_19 Depth=2
	s_and_saveexec_b64 s[38:39], s[2:3]
	s_cbranch_execz .LBB22_36
; %bb.26:                               ;   in Loop: Header=BB22_19 Depth=2
	v_mad_u64_u32 v[10:11], s[8:9], s24, v15, v[3:4]
	v_cmp_gt_i32_e64 s[6:7], v16, v15
	v_ashrrev_i32_e32 v9, 31, v8
	s_mov_b64 s[40:41], 0
	v_mov_b32_e32 v37, v30
	s_branch .LBB22_28
.LBB22_27:                              ;   in Loop: Header=BB22_28 Depth=3
	s_or_b64 exec, exec, s[42:43]
	v_add_u32_e32 v37, 1, v37
	v_cmp_ge_i32_e64 s[8:9], v37, v31
	s_or_b64 s[40:41], s[8:9], s[40:41]
	v_add_u32_e32 v10, s23, v10
	s_andn2_b64 exec, exec, s[40:41]
	s_cbranch_execz .LBB22_36
.LBB22_28:                              ;   Parent Loop BB22_13 Depth=1
                                        ;     Parent Loop BB22_19 Depth=2
                                        ; =>    This Loop Header: Depth=3
                                        ;         Child Loop BB22_31 Depth 4
                                        ;           Child Loop BB22_34 Depth 5
	s_and_saveexec_b64 s[42:43], s[6:7]
	s_cbranch_execz .LBB22_27
; %bb.29:                               ;   in Loop: Header=BB22_28 Depth=3
	v_mul_lo_u32 v11, v37, s23
	v_mov_b32_e32 v13, s59
	s_mov_b64 s[44:45], 0
	v_mov_b32_e32 v40, v10
	v_ashrrev_i32_e32 v12, 31, v11
	v_lshlrev_b64 v[11:12], 3, v[11:12]
	v_mov_b32_e32 v41, v15
	v_add_co_u32_e64 v38, s[8:9], s58, v11
	v_addc_co_u32_e64 v39, s[8:9], v13, v12, s[8:9]
	s_branch .LBB22_31
.LBB22_30:                              ;   in Loop: Header=BB22_31 Depth=4
	s_or_b64 exec, exec, s[46:47]
	v_add_u32_e32 v41, 1, v41
	v_cmp_ge_i32_e64 s[8:9], v41, v16
	s_or_b64 s[44:45], s[8:9], s[44:45]
	v_add_u32_e32 v40, s24, v40
	s_andn2_b64 exec, exec, s[44:45]
	s_cbranch_execz .LBB22_27
.LBB22_31:                              ;   Parent Loop BB22_13 Depth=1
                                        ;     Parent Loop BB22_19 Depth=2
                                        ;       Parent Loop BB22_28 Depth=3
                                        ; =>      This Loop Header: Depth=4
                                        ;           Child Loop BB22_34 Depth 5
	s_and_saveexec_b64 s[46:47], s[0:1]
	s_cbranch_execz .LBB22_30
; %bb.32:                               ;   in Loop: Header=BB22_31 Depth=4
	v_mul_lo_u32 v11, v41, s24
	s_mov_b64 s[48:49], 0
	v_mov_b32_e32 v44, v0
	v_mov_b32_e32 v13, v24
	v_ashrrev_i32_e32 v12, 31, v11
	v_lshlrev_b64 v[11:12], 3, v[11:12]
	v_add_co_u32_e64 v42, s[8:9], v38, v11
	v_addc_co_u32_e64 v43, s[8:9], v39, v12, s[8:9]
	v_mov_b32_e32 v11, v25
	s_branch .LBB22_34
.LBB22_33:                              ;   in Loop: Header=BB22_34 Depth=5
	s_or_b64 exec, exec, s[50:51]
	v_ashrrev_i32_e32 v12, 31, v11
	v_cmp_le_i64_e64 s[8:9], s[28:29], v[11:12]
	v_add_u32_e32 v13, s22, v13
	v_add_u32_e32 v11, s68, v11
	s_or_b64 s[48:49], s[8:9], s[48:49]
	v_add_u32_e32 v44, s25, v44
	s_andn2_b64 exec, exec, s[48:49]
	s_cbranch_execz .LBB22_30
.LBB22_34:                              ;   Parent Loop BB22_13 Depth=1
                                        ;     Parent Loop BB22_19 Depth=2
                                        ;       Parent Loop BB22_28 Depth=3
                                        ;         Parent Loop BB22_31 Depth=4
                                        ; =>        This Inner Loop Header: Depth=5
	v_ashrrev_i32_e32 v14, 31, v13
	v_lshlrev_b64 v[45:46], 3, v[13:14]
	v_add_co_u32_e64 v45, s[8:9], v42, v45
	v_addc_co_u32_e64 v46, s[8:9], v43, v46, s[8:9]
	global_load_dwordx2 v[45:46], v[45:46], off
	s_waitcnt vmcnt(0)
	v_cmp_eq_u64_e64 s[8:9], v[45:46], v[8:9]
	s_and_saveexec_b64 s[50:51], s[8:9]
	s_cbranch_execz .LBB22_33
; %bb.35:                               ;   in Loop: Header=BB22_34 Depth=5
	v_add_u32_e32 v45, v40, v13
	v_ashrrev_i32_e32 v46, 31, v45
	v_lshlrev_b64 v[45:46], 1, v[45:46]
	v_mov_b32_e32 v12, s61
	v_add_co_u32_e64 v45, s[8:9], s60, v45
	v_addc_co_u32_e64 v46, s[8:9], v12, v46, s[8:9]
	global_load_ushort v12, v[45:46], off
	ds_read_b32 v14, v44
	s_waitcnt vmcnt(0)
	v_cvt_f32_f16_e32 v12, v12
	s_waitcnt lgkmcnt(0)
	v_add_f32_e32 v12, v14, v12
	ds_write_b32 v44, v12
	s_branch .LBB22_33
.LBB22_36:                              ;   in Loop: Header=BB22_19 Depth=2
	s_or_b64 exec, exec, s[38:39]
                                        ; implicit-def: $vgpr16
                                        ; implicit-def: $vgpr15
                                        ; implicit-def: $vgpr9
	s_andn2_saveexec_b64 s[36:37], s[36:37]
	s_cbranch_execz .LBB22_24
.LBB22_37:                              ;   in Loop: Header=BB22_19 Depth=2
	s_and_saveexec_b64 s[38:39], s[0:1]
	s_cbranch_execz .LBB22_49
; %bb.38:                               ;   in Loop: Header=BB22_19 Depth=2
	v_mul_lo_u32 v10, v15, s24
	v_cmp_gt_i32_e64 s[6:7], v16, v15
	v_cmp_lt_i32_e64 s[8:9], v9, v16
	s_and_b64 s[40:41], s[2:3], s[6:7]
	v_add_u32_e32 v12, s24, v10
	v_ashrrev_i32_e32 v11, 31, v10
	v_ashrrev_i32_e32 v13, 31, v12
	v_add_u32_e32 v37, v35, v12
	v_add_u32_e32 v38, v35, v10
	;; [unrolled: 1-line block ×4, first 2 shown]
	v_lshlrev_b64 v[9:10], 3, v[10:11]
	v_lshlrev_b64 v[11:12], 3, v[12:13]
	s_and_b64 s[42:43], s[2:3], s[8:9]
	s_and_b64 s[44:45], s[4:5], s[6:7]
	;; [unrolled: 1-line block ×3, first 2 shown]
	s_mov_b64 s[46:47], 0
	v_mov_b32_e32 v41, v0
	v_mov_b32_e32 v13, v25
	;; [unrolled: 1-line block ×3, first 2 shown]
	s_branch .LBB22_40
.LBB22_39:                              ;   in Loop: Header=BB22_40 Depth=3
	s_or_b64 exec, exec, s[54:55]
	s_waitcnt vmcnt(0)
	v_cvt_f32_f16_e32 v14, v29
	v_cvt_f32_f16_e32 v16, v28
	;; [unrolled: 1-line block ×4, first 2 shown]
	v_add_f32_e32 v14, 0, v14
	v_cndmask_b32_e64 v14, 0, v14, s[48:49]
	v_add_f32_e32 v16, v14, v16
	v_cndmask_b32_e64 v14, v14, v16, s[52:53]
	ds_read_b32 v16, v41
	v_add_f32_e32 v42, v14, v42
	v_cndmask_b32_e64 v14, v14, v42, s[50:51]
	v_add_f32_e32 v42, v14, v43
	v_cndmask_b32_e64 v14, v14, v42, s[6:7]
	s_waitcnt lgkmcnt(0)
	v_add_f32_e32 v14, v14, v16
	ds_write_b32 v41, v14
	v_ashrrev_i32_e32 v14, 31, v13
	v_cmp_le_i64_e64 s[6:7], s[28:29], v[13:14]
	v_add_u32_e32 v15, s22, v15
	v_add_u32_e32 v13, s68, v13
	s_or_b64 s[46:47], s[6:7], s[46:47]
	v_add_u32_e32 v41, s25, v41
	s_andn2_b64 exec, exec, s[46:47]
	s_cbranch_execz .LBB22_48
.LBB22_40:                              ;   Parent Loop BB22_13 Depth=1
                                        ;     Parent Loop BB22_19 Depth=2
                                        ; =>    This Inner Loop Header: Depth=3
	v_ashrrev_i32_e32 v16, 31, v15
	v_lshlrev_b64 v[42:43], 3, v[15:16]
	v_mov_b32_e32 v16, s59
	v_add_co_u32_e64 v14, s[6:7], s58, v42
	v_addc_co_u32_e64 v16, s[6:7], v16, v43, s[6:7]
	v_add_co_u32_e64 v42, s[6:7], v14, v4
	v_addc_co_u32_e64 v43, s[6:7], v16, v5, s[6:7]
	s_mov_b64 s[48:49], 0
	s_and_saveexec_b64 s[50:51], s[40:41]
	s_cbranch_execz .LBB22_42
; %bb.41:                               ;   in Loop: Header=BB22_40 Depth=3
	v_add_co_u32_e64 v44, s[6:7], v42, v9
	v_addc_co_u32_e64 v45, s[6:7], v43, v10, s[6:7]
	global_load_dword v46, v[44:45], off
	v_add_u32_e32 v44, v40, v15
	v_ashrrev_i32_e32 v45, 31, v44
	v_lshlrev_b64 v[44:45], 1, v[44:45]
	v_mov_b32_e32 v29, s61
	v_add_co_u32_e64 v44, s[6:7], s60, v44
	v_addc_co_u32_e64 v45, s[6:7], v29, v45, s[6:7]
	global_load_ushort v29, v[44:45], off
	s_waitcnt vmcnt(1)
	v_cmp_eq_u32_e64 s[6:7], v8, v46
	s_and_b64 s[48:49], s[6:7], exec
.LBB22_42:                              ;   in Loop: Header=BB22_40 Depth=3
	s_or_b64 exec, exec, s[50:51]
	s_mov_b64 s[50:51], 0
	s_mov_b64 s[52:53], 0
	s_and_saveexec_b64 s[54:55], s[42:43]
	s_cbranch_execz .LBB22_44
; %bb.43:                               ;   in Loop: Header=BB22_40 Depth=3
	v_add_co_u32_e64 v42, s[6:7], v42, v11
	v_addc_co_u32_e64 v43, s[6:7], v43, v12, s[6:7]
	global_load_dword v44, v[42:43], off
	v_add_u32_e32 v42, v39, v15
	v_ashrrev_i32_e32 v43, 31, v42
	v_lshlrev_b64 v[42:43], 1, v[42:43]
	v_mov_b32_e32 v28, s61
	v_add_co_u32_e64 v42, s[6:7], s60, v42
	v_addc_co_u32_e64 v43, s[6:7], v28, v43, s[6:7]
	global_load_ushort v28, v[42:43], off
	s_waitcnt vmcnt(1)
	v_cmp_eq_u32_e64 s[6:7], v8, v44
	s_and_b64 s[52:53], s[6:7], exec
.LBB22_44:                              ;   in Loop: Header=BB22_40 Depth=3
	s_or_b64 exec, exec, s[54:55]
	v_add_co_u32_e64 v14, s[6:7], v14, v6
	v_addc_co_u32_e64 v16, s[6:7], v16, v7, s[6:7]
	s_and_saveexec_b64 s[54:55], s[44:45]
	s_cbranch_execz .LBB22_46
; %bb.45:                               ;   in Loop: Header=BB22_40 Depth=3
	v_add_co_u32_e64 v42, s[6:7], v14, v9
	v_addc_co_u32_e64 v43, s[6:7], v16, v10, s[6:7]
	global_load_dword v44, v[42:43], off
	v_add_u32_e32 v42, v38, v15
	v_ashrrev_i32_e32 v43, 31, v42
	v_lshlrev_b64 v[42:43], 1, v[42:43]
	v_mov_b32_e32 v27, s61
	v_add_co_u32_e64 v42, s[6:7], s60, v42
	v_addc_co_u32_e64 v43, s[6:7], v27, v43, s[6:7]
	global_load_ushort v27, v[42:43], off
	s_waitcnt vmcnt(1)
	v_cmp_eq_u32_e64 s[6:7], v8, v44
	s_and_b64 s[50:51], s[6:7], exec
.LBB22_46:                              ;   in Loop: Header=BB22_40 Depth=3
	s_or_b64 exec, exec, s[54:55]
	s_mov_b64 s[6:7], 0
	s_and_saveexec_b64 s[54:55], s[8:9]
	s_cbranch_execz .LBB22_39
; %bb.47:                               ;   in Loop: Header=BB22_40 Depth=3
	v_add_co_u32_e64 v42, s[6:7], v14, v11
	v_addc_co_u32_e64 v43, s[6:7], v16, v12, s[6:7]
	global_load_dword v14, v[42:43], off
	v_add_u32_e32 v42, v37, v15
	v_ashrrev_i32_e32 v43, 31, v42
	v_lshlrev_b64 v[42:43], 1, v[42:43]
	v_mov_b32_e32 v16, s61
	v_add_co_u32_e64 v42, s[6:7], s60, v42
	v_addc_co_u32_e64 v43, s[6:7], v16, v43, s[6:7]
	global_load_ushort v26, v[42:43], off
	s_waitcnt vmcnt(1)
	v_cmp_eq_u32_e64 s[6:7], v8, v14
	s_and_b64 s[6:7], s[6:7], exec
	s_branch .LBB22_39
.LBB22_48:                              ;   in Loop: Header=BB22_19 Depth=2
	s_or_b64 exec, exec, s[46:47]
.LBB22_49:                              ;   in Loop: Header=BB22_19 Depth=2
	s_or_b64 exec, exec, s[38:39]
	s_or_b64 exec, exec, s[36:37]
	s_and_saveexec_b64 s[36:37], s[0:1]
	s_cbranch_execz .LBB22_52
.LBB22_50:                              ;   in Loop: Header=BB22_19 Depth=2
	v_ashrrev_i32_e32 v10, 31, v8
	v_mul_lo_u32 v11, s29, v8
	v_mad_u64_u32 v[8:9], s[6:7], s28, v8, 0
	v_mul_lo_u32 v10, s28, v10
	s_mov_b64 s[38:39], 0
	v_mov_b32_e32 v14, v0
	v_add3_u32 v9, v9, v10, v11
	v_lshlrev_b64 v[8:9], 1, v[8:9]
	v_mov_b32_e32 v10, s57
	v_add_co_u32_e64 v12, s[6:7], s11, v8
	v_addc_co_u32_e64 v13, s[6:7], v10, v9, s[6:7]
	v_mov_b32_e32 v11, v2
	v_mov_b32_e32 v8, v25
	;; [unrolled: 1-line block ×3, first 2 shown]
.LBB22_51:                              ;   Parent Loop BB22_13 Depth=1
                                        ;     Parent Loop BB22_19 Depth=2
                                        ; =>    This Inner Loop Header: Depth=3
	ds_read_b32 v37, v14
	v_ashrrev_i32_e32 v9, 31, v8
	v_lshlrev_b64 v[15:16], 1, v[10:11]
	v_mov_b32_e32 v11, v9
	v_mov_b32_e32 v10, v8
	v_cmp_le_i64_e64 s[6:7], s[28:29], v[8:9]
	s_waitcnt lgkmcnt(0)
	v_cvt_f16_f32_e32 v9, v37
	v_add_co_u32_e64 v15, s[8:9], v12, v15
	ds_write_b32 v14, v22
	v_add_u32_e32 v14, s25, v14
	v_add_u32_e32 v8, s68, v8
	v_addc_co_u32_e64 v16, s[8:9], v13, v16, s[8:9]
	s_or_b64 s[38:39], s[6:7], s[38:39]
	global_store_short v[15:16], v9, off
	s_andn2_b64 exec, exec, s[38:39]
	s_cbranch_execnz .LBB22_51
.LBB22_52:                              ;   in Loop: Header=BB22_19 Depth=2
	s_or_b64 exec, exec, s[36:37]
                                        ; implicit-def: $vgpr15
                                        ; implicit-def: $vgpr8
.LBB22_53:                              ;   in Loop: Header=BB22_19 Depth=2
	s_andn2_saveexec_b64 s[8:9], s[34:35]
	s_cbranch_execz .LBB22_18
; %bb.54:                               ;   in Loop: Header=BB22_19 Depth=2
	s_and_saveexec_b64 s[34:35], s[0:1]
	s_cbranch_execz .LBB22_17
; %bb.55:                               ;   in Loop: Header=BB22_19 Depth=2
	v_mul_lo_u32 v10, v15, s24
	v_ashrrev_i32_e32 v9, 31, v8
	v_mul_lo_u32 v15, s29, v8
	v_mul_lo_u32 v38, s28, v9
	v_mad_u64_u32 v[13:14], s[6:7], s28, v8, 0
	v_ashrrev_i32_e32 v11, 31, v10
	v_lshlrev_b64 v[11:12], 3, v[10:11]
	v_add3_u32 v14, v14, v38, v15
	v_add_co_u32_e64 v16, s[6:7], v33, v11
	v_addc_co_u32_e64 v37, s[6:7], v34, v12, s[6:7]
	v_lshlrev_b64 v[11:12], 1, v[13:14]
	v_mov_b32_e32 v13, s57
	v_add_co_u32_e64 v38, s[6:7], s11, v11
	v_mov_b32_e32 v15, v2
	v_addc_co_u32_e64 v39, s[6:7], v13, v12, s[6:7]
	v_add_u32_e32 v40, v10, v3
	s_mov_b64 s[36:37], 0
	v_mov_b32_e32 v10, v25
	v_mov_b32_e32 v12, v24
	;; [unrolled: 1-line block ×3, first 2 shown]
	s_branch .LBB22_57
.LBB22_56:                              ;   in Loop: Header=BB22_57 Depth=3
	s_or_b64 exec, exec, s[38:39]
	v_ashrrev_i32_e32 v11, 31, v10
	v_cmp_le_i64_e64 s[6:7], s[28:29], v[10:11]
	v_mov_b32_e32 v15, v11
	v_mov_b32_e32 v14, v10
	v_add_u32_e32 v12, s22, v12
	s_or_b64 s[36:37], s[6:7], s[36:37]
	v_add_u32_e32 v10, s68, v10
	s_andn2_b64 exec, exec, s[36:37]
	s_cbranch_execz .LBB22_17
.LBB22_57:                              ;   Parent Loop BB22_13 Depth=1
                                        ;     Parent Loop BB22_19 Depth=2
                                        ; =>    This Inner Loop Header: Depth=3
	v_ashrrev_i32_e32 v13, 31, v12
	v_lshlrev_b64 v[41:42], 3, v[12:13]
	v_add_co_u32_e64 v41, s[6:7], v16, v41
	v_addc_co_u32_e64 v42, s[6:7], v37, v42, s[6:7]
	global_load_dwordx2 v[41:42], v[41:42], off
	s_waitcnt vmcnt(0)
	v_cmp_eq_u64_e64 s[6:7], v[41:42], v[8:9]
	s_and_saveexec_b64 s[38:39], s[6:7]
	s_cbranch_execz .LBB22_56
; %bb.58:                               ;   in Loop: Header=BB22_57 Depth=3
	v_add_u32_e32 v41, v40, v12
	v_ashrrev_i32_e32 v42, 31, v41
	v_lshlrev_b64 v[41:42], 1, v[41:42]
	v_mov_b32_e32 v11, s61
	v_add_co_u32_e64 v41, s[6:7], s60, v41
	v_addc_co_u32_e64 v42, s[6:7], v11, v42, s[6:7]
	global_load_ushort v11, v[41:42], off
	v_lshlrev_b64 v[13:14], 1, v[14:15]
	v_add_co_u32_e64 v13, s[6:7], v38, v13
	v_addc_co_u32_e64 v14, s[6:7], v39, v14, s[6:7]
	s_waitcnt vmcnt(0)
	global_store_short v[13:14], v11, off
	s_branch .LBB22_56
.LBB22_59:
	s_endpgm
.LBB22_60:
                                        ; implicit-def: $sgpr2_sgpr3
	s_andn2_b64 vcc, exec, s[34:35]
	s_cbranch_vccz .LBB22_5
	s_branch .LBB22_6
.LBB22_61:
                                        ; implicit-def: $sgpr36_sgpr37
	s_andn2_b64 vcc, exec, s[34:35]
	s_cbranch_vccz .LBB22_8
	s_branch .LBB22_9
	.section	.rodata,"a",@progbits
	.p2align	6, 0x0
	.amdhsa_kernel _ZN2at6native12_GLOBAL__N_122max_pool_backward_nhwcIN3c104HalfEfEEvPKT_PKlillliiiiiiiiiiiiiiiPS5_
		.amdhsa_group_segment_fixed_size 0
		.amdhsa_private_segment_fixed_size 0
		.amdhsa_kernarg_size 376
		.amdhsa_user_sgpr_count 6
		.amdhsa_user_sgpr_private_segment_buffer 1
		.amdhsa_user_sgpr_dispatch_ptr 0
		.amdhsa_user_sgpr_queue_ptr 0
		.amdhsa_user_sgpr_kernarg_segment_ptr 1
		.amdhsa_user_sgpr_dispatch_id 0
		.amdhsa_user_sgpr_flat_scratch_init 0
		.amdhsa_user_sgpr_private_segment_size 0
		.amdhsa_uses_dynamic_stack 0
		.amdhsa_system_sgpr_private_segment_wavefront_offset 0
		.amdhsa_system_sgpr_workgroup_id_x 1
		.amdhsa_system_sgpr_workgroup_id_y 1
		.amdhsa_system_sgpr_workgroup_id_z 1
		.amdhsa_system_sgpr_workgroup_info 0
		.amdhsa_system_vgpr_workitem_id 2
		.amdhsa_next_free_vgpr 47
		.amdhsa_next_free_sgpr 71
		.amdhsa_reserve_vcc 1
		.amdhsa_reserve_flat_scratch 0
		.amdhsa_float_round_mode_32 0
		.amdhsa_float_round_mode_16_64 0
		.amdhsa_float_denorm_mode_32 3
		.amdhsa_float_denorm_mode_16_64 3
		.amdhsa_dx10_clamp 1
		.amdhsa_ieee_mode 1
		.amdhsa_fp16_overflow 0
		.amdhsa_exception_fp_ieee_invalid_op 0
		.amdhsa_exception_fp_denorm_src 0
		.amdhsa_exception_fp_ieee_div_zero 0
		.amdhsa_exception_fp_ieee_overflow 0
		.amdhsa_exception_fp_ieee_underflow 0
		.amdhsa_exception_fp_ieee_inexact 0
		.amdhsa_exception_int_div_zero 0
	.end_amdhsa_kernel
	.section	.text._ZN2at6native12_GLOBAL__N_122max_pool_backward_nhwcIN3c104HalfEfEEvPKT_PKlillliiiiiiiiiiiiiiiPS5_,"axG",@progbits,_ZN2at6native12_GLOBAL__N_122max_pool_backward_nhwcIN3c104HalfEfEEvPKT_PKlillliiiiiiiiiiiiiiiPS5_,comdat
.Lfunc_end22:
	.size	_ZN2at6native12_GLOBAL__N_122max_pool_backward_nhwcIN3c104HalfEfEEvPKT_PKlillliiiiiiiiiiiiiiiPS5_, .Lfunc_end22-_ZN2at6native12_GLOBAL__N_122max_pool_backward_nhwcIN3c104HalfEfEEvPKT_PKlillliiiiiiiiiiiiiiiPS5_
                                        ; -- End function
	.set _ZN2at6native12_GLOBAL__N_122max_pool_backward_nhwcIN3c104HalfEfEEvPKT_PKlillliiiiiiiiiiiiiiiPS5_.num_vgpr, 47
	.set _ZN2at6native12_GLOBAL__N_122max_pool_backward_nhwcIN3c104HalfEfEEvPKT_PKlillliiiiiiiiiiiiiiiPS5_.num_agpr, 0
	.set _ZN2at6native12_GLOBAL__N_122max_pool_backward_nhwcIN3c104HalfEfEEvPKT_PKlillliiiiiiiiiiiiiiiPS5_.numbered_sgpr, 71
	.set _ZN2at6native12_GLOBAL__N_122max_pool_backward_nhwcIN3c104HalfEfEEvPKT_PKlillliiiiiiiiiiiiiiiPS5_.num_named_barrier, 0
	.set _ZN2at6native12_GLOBAL__N_122max_pool_backward_nhwcIN3c104HalfEfEEvPKT_PKlillliiiiiiiiiiiiiiiPS5_.private_seg_size, 0
	.set _ZN2at6native12_GLOBAL__N_122max_pool_backward_nhwcIN3c104HalfEfEEvPKT_PKlillliiiiiiiiiiiiiiiPS5_.uses_vcc, 1
	.set _ZN2at6native12_GLOBAL__N_122max_pool_backward_nhwcIN3c104HalfEfEEvPKT_PKlillliiiiiiiiiiiiiiiPS5_.uses_flat_scratch, 0
	.set _ZN2at6native12_GLOBAL__N_122max_pool_backward_nhwcIN3c104HalfEfEEvPKT_PKlillliiiiiiiiiiiiiiiPS5_.has_dyn_sized_stack, 0
	.set _ZN2at6native12_GLOBAL__N_122max_pool_backward_nhwcIN3c104HalfEfEEvPKT_PKlillliiiiiiiiiiiiiiiPS5_.has_recursion, 0
	.set _ZN2at6native12_GLOBAL__N_122max_pool_backward_nhwcIN3c104HalfEfEEvPKT_PKlillliiiiiiiiiiiiiiiPS5_.has_indirect_call, 0
	.section	.AMDGPU.csdata,"",@progbits
; Kernel info:
; codeLenInByte = 4536
; TotalNumSgprs: 75
; NumVgprs: 47
; ScratchSize: 0
; MemoryBound: 0
; FloatMode: 240
; IeeeMode: 1
; LDSByteSize: 0 bytes/workgroup (compile time only)
; SGPRBlocks: 9
; VGPRBlocks: 11
; NumSGPRsForWavesPerEU: 75
; NumVGPRsForWavesPerEU: 47
; Occupancy: 5
; WaveLimiterHint : 0
; COMPUTE_PGM_RSRC2:SCRATCH_EN: 0
; COMPUTE_PGM_RSRC2:USER_SGPR: 6
; COMPUTE_PGM_RSRC2:TRAP_HANDLER: 0
; COMPUTE_PGM_RSRC2:TGID_X_EN: 1
; COMPUTE_PGM_RSRC2:TGID_Y_EN: 1
; COMPUTE_PGM_RSRC2:TGID_Z_EN: 1
; COMPUTE_PGM_RSRC2:TIDIG_COMP_CNT: 2
	.section	.text._ZN2at6native12_GLOBAL__N_122max_pool_backward_nchwIN3c104HalfEfiEEvPKT_PKlT1_SA_SA_SA_SA_SA_iiiiiiiiPS5_,"axG",@progbits,_ZN2at6native12_GLOBAL__N_122max_pool_backward_nchwIN3c104HalfEfiEEvPKT_PKlT1_SA_SA_SA_SA_SA_iiiiiiiiPS5_,comdat
	.globl	_ZN2at6native12_GLOBAL__N_122max_pool_backward_nchwIN3c104HalfEfiEEvPKT_PKlT1_SA_SA_SA_SA_SA_iiiiiiiiPS5_ ; -- Begin function _ZN2at6native12_GLOBAL__N_122max_pool_backward_nchwIN3c104HalfEfiEEvPKT_PKlT1_SA_SA_SA_SA_SA_iiiiiiiiPS5_
	.p2align	8
	.type	_ZN2at6native12_GLOBAL__N_122max_pool_backward_nchwIN3c104HalfEfiEEvPKT_PKlT1_SA_SA_SA_SA_SA_iiiiiiiiPS5_,@function
_ZN2at6native12_GLOBAL__N_122max_pool_backward_nchwIN3c104HalfEfiEEvPKT_PKlT1_SA_SA_SA_SA_SA_iiiiiiiiPS5_: ; @_ZN2at6native12_GLOBAL__N_122max_pool_backward_nchwIN3c104HalfEfiEEvPKT_PKlT1_SA_SA_SA_SA_SA_iiiiiiiiPS5_
; %bb.0:
	s_load_dword s0, s[4:5], 0x5c
	s_load_dwordx8 s[12:19], s[4:5], 0x10
	s_add_u32 s10, s4, 0x50
	s_addc_u32 s11, s5, 0
	v_mov_b32_e32 v1, 0
	s_waitcnt lgkmcnt(0)
	s_and_b32 s0, s0, 0xffff
	v_mov_b32_e32 v2, s6
	v_mad_u64_u32 v[0:1], s[2:3], s0, v2, v[0:1]
	s_mul_i32 s28, s15, s14
	s_ashr_i32 s29, s28, 31
	v_cmp_gt_i64_e32 vcc, s[28:29], v[0:1]
	s_and_saveexec_b64 s[2:3], vcc
	s_cbranch_execz .LBB23_23
; %bb.1:
	s_load_dwordx8 s[20:27], s[4:5], 0x30
	s_add_i32 s1, s18, -1
	s_add_i32 s2, s19, -1
	s_mul_i32 s52, s17, s16
	s_mul_i32 s53, s52, s13
	s_waitcnt lgkmcnt(0)
	s_mul_i32 s6, s24, s1
	s_mul_i32 s9, s25, s2
	s_not_b32 s14, s6
	s_not_b32 s33, s9
	s_cmp_lt_i32 s7, s12
	s_cselect_b64 s[18:19], -1, 0
	s_cmp_lt_i32 s8, s13
	s_cselect_b64 s[30:31], -1, 0
	s_abs_i32 s44, s15
	v_cvt_f32_u32_e32 v2, s44
	s_abs_i32 s45, s20
	v_cvt_f32_u32_e32 v3, s45
	s_abs_i32 s46, s21
	v_rcp_iflag_f32_e32 v2, v2
	v_cvt_f32_u32_e32 v4, s46
	v_rcp_iflag_f32_e32 v3, v3
	s_load_dwordx2 s[34:35], s[4:5], 0x48
	s_load_dword s1, s[10:11], 0x0
	v_mul_f32_e32 v2, 0x4f7ffffe, v2
	v_rcp_iflag_f32_e32 v4, v4
	v_cvt_u32_f32_e32 v2, v2
	v_mul_f32_e32 v3, 0x4f7ffffe, v3
	s_sub_i32 s2, 0, s44
	v_cvt_u32_f32_e32 v3, v3
	v_mul_f32_e32 v4, 0x4f7ffffe, v4
	v_mul_lo_u32 v5, s2, v2
	v_cvt_u32_f32_e32 v4, v4
	s_waitcnt lgkmcnt(0)
	s_mul_i32 s47, s1, s0
	s_sub_i32 s0, 0, s45
	v_mul_lo_u32 v6, s0, v3
	s_sub_i32 s0, 0, s46
	v_mul_hi_u32 v5, v2, v5
	v_mul_lo_u32 v7, s0, v4
	s_load_dwordx4 s[24:27], s[4:5], 0x0
	v_mul_hi_u32 v8, v3, v6
	v_add_u32_e32 v6, v2, v5
	v_mul_hi_u32 v2, v4, v7
	s_mul_i32 s0, s7, s13
	s_add_i32 s0, s8, s0
	s_ashr_i32 s48, s15, 31
	s_ashr_i32 s49, s20, 31
	v_add_u32_e32 v7, v3, v8
	s_ashr_i32 s50, s21, 31
	v_add_u32_e32 v8, v4, v2
	s_mul_i32 s51, s16, s0
	s_mov_b64 s[4:5], 0
	s_branch .LBB23_3
.LBB23_2:                               ;   in Loop: Header=BB23_3 Depth=1
	v_add_co_u32_e32 v0, vcc, s47, v0
	v_addc_co_u32_e32 v1, vcc, 0, v1, vcc
	v_cmp_le_i64_e32 vcc, s[28:29], v[0:1]
	s_or_b64 s[4:5], vcc, s[4:5]
	s_andn2_b64 exec, exec, s[4:5]
	s_cbranch_execz .LBB23_23
.LBB23_3:                               ; =>This Loop Header: Depth=1
                                        ;     Child Loop BB23_10 Depth 2
                                        ;       Child Loop BB23_14 Depth 3
                                        ;         Child Loop BB23_18 Depth 4
                                        ;           Child Loop BB23_21 Depth 5
	v_sub_u32_e32 v2, 0, v0
	v_max_i32_e32 v3, v0, v2
	v_mul_hi_u32 v4, v3, v6
	v_ashrrev_i32_e32 v5, 31, v0
	v_xor_b32_e32 v5, s48, v5
	v_mov_b32_e32 v2, 0
	v_mul_lo_u32 v9, v4, s44
	v_add_u32_e32 v10, 1, v4
	v_sub_u32_e32 v3, v3, v9
	v_cmp_le_u32_e32 vcc, s44, v3
	v_subrev_u32_e32 v9, s44, v3
	v_cndmask_b32_e32 v4, v4, v10, vcc
	v_cndmask_b32_e32 v3, v3, v9, vcc
	v_add_u32_e32 v9, 1, v4
	v_cmp_le_u32_e32 vcc, s44, v3
	v_cndmask_b32_e32 v3, v4, v9, vcc
	v_xor_b32_e32 v3, v3, v5
	v_sub_u32_e32 v4, v3, v5
	v_add_u32_e32 v3, s22, v4
	v_cmp_lt_i32_e32 vcc, s6, v3
	v_mov_b32_e32 v9, 0
	s_and_saveexec_b64 s[0:1], vcc
	s_cbranch_execz .LBB23_5
; %bb.4:                                ;   in Loop: Header=BB23_3 Depth=1
	v_add_u32_e32 v5, s14, v3
	v_sub_u32_e32 v9, 0, v5
	v_max_i32_e32 v9, v5, v9
	v_mul_hi_u32 v10, v9, v7
	v_ashrrev_i32_e32 v5, 31, v5
	v_xor_b32_e32 v5, s49, v5
	v_mul_lo_u32 v11, v10, s45
	v_add_u32_e32 v12, 1, v10
	v_sub_u32_e32 v9, v9, v11
	v_cmp_le_u32_e32 vcc, s45, v9
	v_subrev_u32_e32 v11, s45, v9
	v_cndmask_b32_e32 v10, v10, v12, vcc
	v_cndmask_b32_e32 v9, v9, v11, vcc
	v_add_u32_e32 v11, 1, v10
	v_cmp_le_u32_e32 vcc, s45, v9
	v_cndmask_b32_e32 v9, v10, v11, vcc
	v_xor_b32_e32 v9, v9, v5
	v_sub_u32_e32 v5, v9, v5
	v_add_u32_e32 v9, 1, v5
.LBB23_5:                               ;   in Loop: Header=BB23_3 Depth=1
	s_or_b64 exec, exec, s[0:1]
	v_mul_lo_u32 v4, v4, s15
	v_sub_u32_e32 v4, v0, v4
	v_add_u32_e32 v4, s23, v4
	v_cmp_lt_i32_e32 vcc, s9, v4
	s_and_saveexec_b64 s[0:1], vcc
	s_cbranch_execz .LBB23_7
; %bb.6:                                ;   in Loop: Header=BB23_3 Depth=1
	v_add_u32_e32 v2, s33, v4
	v_sub_u32_e32 v5, 0, v2
	v_max_i32_e32 v5, v2, v5
	v_mul_hi_u32 v10, v5, v8
	v_ashrrev_i32_e32 v2, 31, v2
	v_xor_b32_e32 v2, s50, v2
	v_mul_lo_u32 v11, v10, s46
	v_add_u32_e32 v12, 1, v10
	v_sub_u32_e32 v5, v5, v11
	v_cmp_le_u32_e32 vcc, s46, v5
	v_subrev_u32_e32 v11, s46, v5
	v_cndmask_b32_e32 v10, v10, v12, vcc
	v_cndmask_b32_e32 v5, v5, v11, vcc
	v_add_u32_e32 v11, 1, v10
	v_cmp_le_u32_e32 vcc, s46, v5
	v_cndmask_b32_e32 v5, v10, v11, vcc
	v_xor_b32_e32 v5, v5, v2
	v_sub_u32_e32 v2, v5, v2
	v_add_u32_e32 v2, 1, v2
.LBB23_7:                               ;   in Loop: Header=BB23_3 Depth=1
	s_or_b64 exec, exec, s[0:1]
	s_andn2_b64 vcc, exec, s[18:19]
	s_cbranch_vccnz .LBB23_2
; %bb.8:                                ;   in Loop: Header=BB23_3 Depth=1
	v_sub_u32_e32 v5, 0, v4
	v_max_i32_e32 v5, v4, v5
	v_mul_hi_u32 v10, v5, v8
	v_ashrrev_i32_e32 v4, 31, v4
	v_xor_b32_e32 v4, s50, v4
	s_load_dword s54, s[10:11], 0x4
	v_mul_lo_u32 v11, v10, s46
	v_add_u32_e32 v12, 1, v10
	s_mov_b32 s56, s7
	s_waitcnt lgkmcnt(0)
	s_mul_i32 s55, s53, s54
	v_sub_u32_e32 v5, v5, v11
	v_cmp_le_u32_e32 vcc, s46, v5
	v_subrev_u32_e32 v11, s46, v5
	v_cndmask_b32_e32 v10, v10, v12, vcc
	v_cndmask_b32_e32 v5, v5, v11, vcc
	v_add_u32_e32 v11, 1, v10
	v_cmp_le_u32_e32 vcc, s46, v5
	v_cndmask_b32_e32 v5, v10, v11, vcc
	v_sub_u32_e32 v10, 0, v3
	v_max_i32_e32 v11, v3, v10
	v_mul_hi_u32 v12, v11, v7
	v_xor_b32_e32 v5, v5, v4
	v_sub_u32_e32 v4, v5, v4
	v_add_u32_e32 v4, 1, v4
	v_mul_lo_u32 v5, v12, s45
	v_min_i32_e32 v10, s17, v4
	v_ashrrev_i32_e32 v3, 31, v3
	v_xor_b32_e32 v3, s49, v3
	v_sub_u32_e32 v4, v11, v5
	v_add_u32_e32 v5, 1, v12
	v_cmp_le_u32_e32 vcc, s45, v4
	v_subrev_u32_e32 v11, s45, v4
	v_cndmask_b32_e32 v5, v12, v5, vcc
	v_cndmask_b32_e32 v4, v4, v11, vcc
	v_add_u32_e32 v11, 1, v5
	v_cmp_le_u32_e32 vcc, s45, v4
	v_cndmask_b32_e32 v4, v5, v11, vcc
	v_xor_b32_e32 v4, v4, v3
	v_sub_u32_e32 v3, v4, v3
	v_add_u32_e32 v3, 1, v3
	v_min_i32_e32 v11, s16, v3
	v_add_u32_e32 v3, s51, v9
	v_mad_u64_u32 v[3:4], s[2:3], s17, v3, v[2:3]
	v_cmp_lt_i32_e64 s[0:1], v9, v11
	v_cmp_lt_i32_e64 s[2:3], v2, v10
	s_branch .LBB23_10
.LBB23_9:                               ;   in Loop: Header=BB23_10 Depth=2
	s_add_i32 s56, s54, s56
	s_cmp_ge_i32 s56, s12
	v_add_u32_e32 v3, s55, v3
	s_cbranch_scc1 .LBB23_2
.LBB23_10:                              ;   Parent Loop BB23_3 Depth=1
                                        ; =>  This Loop Header: Depth=2
                                        ;       Child Loop BB23_14 Depth 3
                                        ;         Child Loop BB23_18 Depth 4
                                        ;           Child Loop BB23_21 Depth 5
	s_andn2_b64 vcc, exec, s[30:31]
	s_cbranch_vccnz .LBB23_9
; %bb.11:                               ;   in Loop: Header=BB23_10 Depth=2
	s_load_dword s57, s[10:11], 0x8
	s_mul_i32 s58, s56, s13
	v_mov_b32_e32 v12, v3
	s_mov_b32 s60, s8
	s_waitcnt lgkmcnt(0)
	s_mul_i32 s59, s52, s57
	s_branch .LBB23_14
.LBB23_12:                              ;   in Loop: Header=BB23_14 Depth=3
	s_or_b64 exec, exec, s[36:37]
	v_cvt_f16_f32_e32 v4, v13
.LBB23_13:                              ;   in Loop: Header=BB23_14 Depth=3
	s_or_b64 exec, exec, s[20:21]
	s_add_i32 s20, s60, s58
	s_mul_i32 s20, s28, s20
	v_add_u32_e32 v13, s20, v0
	v_ashrrev_i32_e32 v14, 31, v13
	v_lshlrev_b64 v[13:14], 1, v[13:14]
	v_mov_b32_e32 v5, s35
	v_add_co_u32_e32 v13, vcc, s34, v13
	s_add_i32 s60, s57, s60
	v_addc_co_u32_e32 v14, vcc, v5, v14, vcc
	s_cmp_ge_i32 s60, s13
	v_add_u32_e32 v12, s59, v12
	global_store_short v[13:14], v4, off
	s_cbranch_scc1 .LBB23_9
.LBB23_14:                              ;   Parent Loop BB23_3 Depth=1
                                        ;     Parent Loop BB23_10 Depth=2
                                        ; =>    This Loop Header: Depth=3
                                        ;         Child Loop BB23_18 Depth 4
                                        ;           Child Loop BB23_21 Depth 5
	v_mov_b32_e32 v4, 0
	s_and_saveexec_b64 s[20:21], s[0:1]
	s_cbranch_execz .LBB23_13
; %bb.15:                               ;   in Loop: Header=BB23_14 Depth=3
	v_mov_b32_e32 v13, 0
	s_mov_b64 s[36:37], 0
	v_mov_b32_e32 v14, v12
	v_mov_b32_e32 v15, v9
	s_branch .LBB23_18
.LBB23_16:                              ;   in Loop: Header=BB23_18 Depth=4
	s_or_b64 exec, exec, s[40:41]
.LBB23_17:                              ;   in Loop: Header=BB23_18 Depth=4
	s_or_b64 exec, exec, s[38:39]
	v_add_u32_e32 v15, 1, v15
	v_cmp_ge_i32_e32 vcc, v15, v11
	s_or_b64 s[36:37], vcc, s[36:37]
	v_add_u32_e32 v14, s17, v14
	s_andn2_b64 exec, exec, s[36:37]
	s_cbranch_execz .LBB23_12
.LBB23_18:                              ;   Parent Loop BB23_3 Depth=1
                                        ;     Parent Loop BB23_10 Depth=2
                                        ;       Parent Loop BB23_14 Depth=3
                                        ; =>      This Loop Header: Depth=4
                                        ;           Child Loop BB23_21 Depth 5
	s_and_saveexec_b64 s[38:39], s[2:3]
	s_cbranch_execz .LBB23_17
; %bb.19:                               ;   in Loop: Header=BB23_18 Depth=4
	s_mov_b64 s[40:41], 0
	v_mov_b32_e32 v4, v14
	v_mov_b32_e32 v16, v2
	s_branch .LBB23_21
.LBB23_20:                              ;   in Loop: Header=BB23_21 Depth=5
	s_or_b64 exec, exec, s[42:43]
	v_add_u32_e32 v16, 1, v16
	v_cmp_ge_i32_e32 vcc, v16, v10
	s_or_b64 s[40:41], vcc, s[40:41]
	v_add_u32_e32 v4, 1, v4
	s_andn2_b64 exec, exec, s[40:41]
	s_cbranch_execz .LBB23_16
.LBB23_21:                              ;   Parent Loop BB23_3 Depth=1
                                        ;     Parent Loop BB23_10 Depth=2
                                        ;       Parent Loop BB23_14 Depth=3
                                        ;         Parent Loop BB23_18 Depth=4
                                        ; =>        This Inner Loop Header: Depth=5
	v_ashrrev_i32_e32 v5, 31, v4
	v_lshlrev_b64 v[17:18], 3, v[4:5]
	v_mov_b32_e32 v19, s27
	v_add_co_u32_e32 v17, vcc, s26, v17
	v_addc_co_u32_e32 v18, vcc, v19, v18, vcc
	global_load_dwordx2 v[17:18], v[17:18], off
	s_waitcnt vmcnt(0)
	v_cmp_eq_u64_e32 vcc, v[17:18], v[0:1]
	s_and_saveexec_b64 s[42:43], vcc
	s_cbranch_execz .LBB23_20
; %bb.22:                               ;   in Loop: Header=BB23_21 Depth=5
	v_lshlrev_b64 v[17:18], 1, v[4:5]
	v_mov_b32_e32 v5, s25
	v_add_co_u32_e32 v17, vcc, s24, v17
	v_addc_co_u32_e32 v18, vcc, v5, v18, vcc
	global_load_ushort v5, v[17:18], off
	s_waitcnt vmcnt(0)
	v_cvt_f32_f16_e32 v5, v5
	v_add_f32_e32 v13, v13, v5
	s_branch .LBB23_20
.LBB23_23:
	s_endpgm
	.section	.rodata,"a",@progbits
	.p2align	6, 0x0
	.amdhsa_kernel _ZN2at6native12_GLOBAL__N_122max_pool_backward_nchwIN3c104HalfEfiEEvPKT_PKlT1_SA_SA_SA_SA_SA_iiiiiiiiPS5_
		.amdhsa_group_segment_fixed_size 0
		.amdhsa_private_segment_fixed_size 0
		.amdhsa_kernarg_size 336
		.amdhsa_user_sgpr_count 6
		.amdhsa_user_sgpr_private_segment_buffer 1
		.amdhsa_user_sgpr_dispatch_ptr 0
		.amdhsa_user_sgpr_queue_ptr 0
		.amdhsa_user_sgpr_kernarg_segment_ptr 1
		.amdhsa_user_sgpr_dispatch_id 0
		.amdhsa_user_sgpr_flat_scratch_init 0
		.amdhsa_user_sgpr_private_segment_size 0
		.amdhsa_uses_dynamic_stack 0
		.amdhsa_system_sgpr_private_segment_wavefront_offset 0
		.amdhsa_system_sgpr_workgroup_id_x 1
		.amdhsa_system_sgpr_workgroup_id_y 1
		.amdhsa_system_sgpr_workgroup_id_z 1
		.amdhsa_system_sgpr_workgroup_info 0
		.amdhsa_system_vgpr_workitem_id 0
		.amdhsa_next_free_vgpr 20
		.amdhsa_next_free_sgpr 61
		.amdhsa_reserve_vcc 1
		.amdhsa_reserve_flat_scratch 0
		.amdhsa_float_round_mode_32 0
		.amdhsa_float_round_mode_16_64 0
		.amdhsa_float_denorm_mode_32 3
		.amdhsa_float_denorm_mode_16_64 3
		.amdhsa_dx10_clamp 1
		.amdhsa_ieee_mode 1
		.amdhsa_fp16_overflow 0
		.amdhsa_exception_fp_ieee_invalid_op 0
		.amdhsa_exception_fp_denorm_src 0
		.amdhsa_exception_fp_ieee_div_zero 0
		.amdhsa_exception_fp_ieee_overflow 0
		.amdhsa_exception_fp_ieee_underflow 0
		.amdhsa_exception_fp_ieee_inexact 0
		.amdhsa_exception_int_div_zero 0
	.end_amdhsa_kernel
	.section	.text._ZN2at6native12_GLOBAL__N_122max_pool_backward_nchwIN3c104HalfEfiEEvPKT_PKlT1_SA_SA_SA_SA_SA_iiiiiiiiPS5_,"axG",@progbits,_ZN2at6native12_GLOBAL__N_122max_pool_backward_nchwIN3c104HalfEfiEEvPKT_PKlT1_SA_SA_SA_SA_SA_iiiiiiiiPS5_,comdat
.Lfunc_end23:
	.size	_ZN2at6native12_GLOBAL__N_122max_pool_backward_nchwIN3c104HalfEfiEEvPKT_PKlT1_SA_SA_SA_SA_SA_iiiiiiiiPS5_, .Lfunc_end23-_ZN2at6native12_GLOBAL__N_122max_pool_backward_nchwIN3c104HalfEfiEEvPKT_PKlT1_SA_SA_SA_SA_SA_iiiiiiiiPS5_
                                        ; -- End function
	.set _ZN2at6native12_GLOBAL__N_122max_pool_backward_nchwIN3c104HalfEfiEEvPKT_PKlT1_SA_SA_SA_SA_SA_iiiiiiiiPS5_.num_vgpr, 20
	.set _ZN2at6native12_GLOBAL__N_122max_pool_backward_nchwIN3c104HalfEfiEEvPKT_PKlT1_SA_SA_SA_SA_SA_iiiiiiiiPS5_.num_agpr, 0
	.set _ZN2at6native12_GLOBAL__N_122max_pool_backward_nchwIN3c104HalfEfiEEvPKT_PKlT1_SA_SA_SA_SA_SA_iiiiiiiiPS5_.numbered_sgpr, 61
	.set _ZN2at6native12_GLOBAL__N_122max_pool_backward_nchwIN3c104HalfEfiEEvPKT_PKlT1_SA_SA_SA_SA_SA_iiiiiiiiPS5_.num_named_barrier, 0
	.set _ZN2at6native12_GLOBAL__N_122max_pool_backward_nchwIN3c104HalfEfiEEvPKT_PKlT1_SA_SA_SA_SA_SA_iiiiiiiiPS5_.private_seg_size, 0
	.set _ZN2at6native12_GLOBAL__N_122max_pool_backward_nchwIN3c104HalfEfiEEvPKT_PKlT1_SA_SA_SA_SA_SA_iiiiiiiiPS5_.uses_vcc, 1
	.set _ZN2at6native12_GLOBAL__N_122max_pool_backward_nchwIN3c104HalfEfiEEvPKT_PKlT1_SA_SA_SA_SA_SA_iiiiiiiiPS5_.uses_flat_scratch, 0
	.set _ZN2at6native12_GLOBAL__N_122max_pool_backward_nchwIN3c104HalfEfiEEvPKT_PKlT1_SA_SA_SA_SA_SA_iiiiiiiiPS5_.has_dyn_sized_stack, 0
	.set _ZN2at6native12_GLOBAL__N_122max_pool_backward_nchwIN3c104HalfEfiEEvPKT_PKlT1_SA_SA_SA_SA_SA_iiiiiiiiPS5_.has_recursion, 0
	.set _ZN2at6native12_GLOBAL__N_122max_pool_backward_nchwIN3c104HalfEfiEEvPKT_PKlT1_SA_SA_SA_SA_SA_iiiiiiiiPS5_.has_indirect_call, 0
	.section	.AMDGPU.csdata,"",@progbits
; Kernel info:
; codeLenInByte = 1240
; TotalNumSgprs: 65
; NumVgprs: 20
; ScratchSize: 0
; MemoryBound: 0
; FloatMode: 240
; IeeeMode: 1
; LDSByteSize: 0 bytes/workgroup (compile time only)
; SGPRBlocks: 8
; VGPRBlocks: 4
; NumSGPRsForWavesPerEU: 65
; NumVGPRsForWavesPerEU: 20
; Occupancy: 10
; WaveLimiterHint : 0
; COMPUTE_PGM_RSRC2:SCRATCH_EN: 0
; COMPUTE_PGM_RSRC2:USER_SGPR: 6
; COMPUTE_PGM_RSRC2:TRAP_HANDLER: 0
; COMPUTE_PGM_RSRC2:TGID_X_EN: 1
; COMPUTE_PGM_RSRC2:TGID_Y_EN: 1
; COMPUTE_PGM_RSRC2:TGID_Z_EN: 1
; COMPUTE_PGM_RSRC2:TIDIG_COMP_CNT: 0
	.section	.text._ZN2at6native12_GLOBAL__N_122max_pool_backward_nchwIN3c104HalfEflEEvPKT_PKlT1_SA_SA_SA_SA_SA_iiiiiiiiPS5_,"axG",@progbits,_ZN2at6native12_GLOBAL__N_122max_pool_backward_nchwIN3c104HalfEflEEvPKT_PKlT1_SA_SA_SA_SA_SA_iiiiiiiiPS5_,comdat
	.globl	_ZN2at6native12_GLOBAL__N_122max_pool_backward_nchwIN3c104HalfEflEEvPKT_PKlT1_SA_SA_SA_SA_SA_iiiiiiiiPS5_ ; -- Begin function _ZN2at6native12_GLOBAL__N_122max_pool_backward_nchwIN3c104HalfEflEEvPKT_PKlT1_SA_SA_SA_SA_SA_iiiiiiiiPS5_
	.p2align	8
	.type	_ZN2at6native12_GLOBAL__N_122max_pool_backward_nchwIN3c104HalfEflEEvPKT_PKlT1_SA_SA_SA_SA_SA_iiiiiiiiPS5_,@function
_ZN2at6native12_GLOBAL__N_122max_pool_backward_nchwIN3c104HalfEflEEvPKT_PKlT1_SA_SA_SA_SA_SA_iiiiiiiiPS5_: ; @_ZN2at6native12_GLOBAL__N_122max_pool_backward_nchwIN3c104HalfEflEEvPKT_PKlT1_SA_SA_SA_SA_SA_iiiiiiiiPS5_
; %bb.0:
	s_load_dword s0, s[4:5], 0x74
	s_load_dwordx16 s[12:27], s[4:5], 0x0
	s_add_u32 s30, s4, 0x68
	v_mov_b32_e32 v2, 0
	s_mov_b32 s28, s7
	s_addc_u32 s31, s5, 0
	s_waitcnt lgkmcnt(0)
	s_and_b32 s7, s0, 0xffff
	v_mov_b32_e32 v1, v2
	v_mov_b32_e32 v3, s6
	v_mad_u64_u32 v[0:1], s[0:1], s7, v3, v[0:1]
	s_mul_i32 s0, s22, s21
	s_mul_hi_u32 s1, s22, s20
	s_add_i32 s0, s1, s0
	s_mul_i32 s1, s23, s20
	s_add_i32 s21, s0, s1
	s_mul_i32 s20, s22, s20
	v_cmp_gt_i64_e32 vcc, s[20:21], v[0:1]
	s_and_saveexec_b64 s[0:1], vcc
	s_cbranch_execz .LBB24_43
; %bb.1:
	s_load_dwordx8 s[40:47], s[4:5], 0x40
	s_load_dwordx2 s[34:35], s[4:5], 0x60
	s_load_dword s6, s[30:31], 0x0
	s_mul_i32 s4, s19, s28
	s_mul_hi_u32 s5, s18, s28
	s_waitcnt lgkmcnt(0)
	s_add_i32 s0, s40, -1
	s_mul_i32 s0, s46, s0
	s_add_i32 s36, s0, 1
	s_add_i32 s0, s41, -1
	s_mul_i32 s0, s47, s0
	s_add_i32 s38, s0, 1
	s_ashr_i32 s33, s44, 31
	s_ashr_i32 s37, s36, 31
	;; [unrolled: 1-line block ×6, first 2 shown]
	s_add_i32 s5, s5, s4
	s_mul_i32 s4, s18, s28
	s_add_u32 s4, s4, s8
	s_addc_u32 s5, s5, 0
	s_mul_i32 s73, s6, s7
	s_mul_i32 s5, s24, s5
	s_mul_hi_u32 s6, s24, s4
	s_add_i32 s5, s6, s5
	s_mul_i32 s6, s25, s4
	s_add_i32 s74, s5, s6
	s_mul_i32 s75, s24, s4
	s_mul_i32 s4, s26, s25
	s_mul_hi_u32 s5, s26, s24
	s_mov_b32 s29, 0
	v_mov_b32_e32 v3, s28
	s_add_i32 s4, s5, s4
	s_mul_i32 s5, s27, s24
	v_mov_b32_e32 v4, s29
	s_add_i32 s5, s4, s5
	s_mul_i32 s4, s26, s24
	v_cmp_gt_i64_e64 s[0:1], s[16:17], v[3:4]
	s_mov_b32 s9, s29
	v_mov_b32_e32 v3, s8
	s_mul_i32 s6, s4, s19
	s_mul_hi_u32 s7, s4, s18
	v_mov_b32_e32 v4, s9
	s_add_i32 s6, s7, s6
	s_mul_i32 s7, s5, s18
	v_cmp_gt_i64_e64 s[2:3], s[18:19], v[3:4]
	s_add_i32 s7, s6, s7
	s_mul_i32 s6, s4, s18
	s_mov_b32 s66, s44
	s_mov_b32 s68, s42
	;; [unrolled: 1-line block ×4, first 2 shown]
	s_lshl_b64 s[40:41], s[6:7], 3
	s_lshl_b64 s[42:43], s[4:5], 3
	;; [unrolled: 1-line block ×6, first 2 shown]
	s_mov_b64 s[52:53], 0
	s_branch .LBB24_3
.LBB24_2:                               ;   in Loop: Header=BB24_3 Depth=1
	v_add_co_u32_e32 v0, vcc, s73, v0
	v_addc_co_u32_e32 v1, vcc, 0, v1, vcc
	v_cmp_le_i64_e32 vcc, s[20:21], v[0:1]
	s_or_b64 s[52:53], vcc, s[52:53]
	s_andn2_b64 exec, exec, s[52:53]
	s_cbranch_execz .LBB24_43
.LBB24_3:                               ; =>This Loop Header: Depth=1
                                        ;     Child Loop BB24_30 Depth 2
                                        ;       Child Loop BB24_34 Depth 3
                                        ;         Child Loop BB24_38 Depth 4
                                        ;           Child Loop BB24_41 Depth 5
	v_or_b32_e32 v3, s23, v1
	v_cmp_ne_u64_e32 vcc, 0, v[2:3]
                                        ; implicit-def: $vgpr6_vgpr7
	s_and_saveexec_b64 s[4:5], vcc
	s_xor_b64 s[6:7], exec, s[4:5]
	s_cbranch_execz .LBB24_5
; %bb.4:                                ;   in Loop: Header=BB24_3 Depth=1
	s_ashr_i32 s10, s23, 31
	s_add_u32 s4, s22, s10
	s_mov_b32 s11, s10
	s_addc_u32 s5, s23, s10
	s_xor_b64 s[54:55], s[4:5], s[10:11]
	v_cvt_f32_u32_e32 v3, s54
	v_cvt_f32_u32_e32 v4, s55
	s_sub_u32 s11, 0, s54
	s_subb_u32 s56, 0, s55
	v_ashrrev_i32_e32 v7, 31, v1
	v_mac_f32_e32 v3, 0x4f800000, v4
	v_rcp_f32_e32 v3, v3
	v_mul_f32_e32 v3, 0x5f7ffffc, v3
	v_mul_f32_e32 v4, 0x2f800000, v3
	v_trunc_f32_e32 v4, v4
	v_mac_f32_e32 v3, 0xcf800000, v4
	v_cvt_u32_f32_e32 v4, v4
	v_cvt_u32_f32_e32 v3, v3
	v_readfirstlane_b32 s57, v4
	v_readfirstlane_b32 s4, v3
	s_mul_i32 s5, s11, s57
	s_mul_hi_u32 s59, s11, s4
	s_mul_i32 s58, s56, s4
	s_add_i32 s5, s59, s5
	s_add_i32 s5, s5, s58
	s_mul_i32 s60, s11, s4
	s_mul_i32 s59, s4, s5
	s_mul_hi_u32 s61, s4, s60
	s_mul_hi_u32 s58, s4, s5
	s_add_u32 s59, s61, s59
	s_addc_u32 s58, 0, s58
	s_mul_hi_u32 s62, s57, s60
	s_mul_i32 s60, s57, s60
	s_add_u32 s59, s59, s60
	s_mul_hi_u32 s61, s57, s5
	s_addc_u32 s58, s58, s62
	s_addc_u32 s59, s61, 0
	s_mul_i32 s5, s57, s5
	s_add_u32 s5, s58, s5
	s_addc_u32 s58, 0, s59
	s_add_u32 s59, s4, s5
	s_cselect_b64 s[4:5], -1, 0
	s_cmp_lg_u64 s[4:5], 0
	s_addc_u32 s57, s57, s58
	s_mul_i32 s4, s11, s57
	s_mul_hi_u32 s5, s11, s59
	s_add_i32 s4, s5, s4
	s_mul_i32 s56, s56, s59
	s_add_i32 s4, s4, s56
	s_mul_i32 s11, s11, s59
	s_mul_hi_u32 s56, s57, s11
	s_mul_i32 s58, s57, s11
	s_mul_i32 s61, s59, s4
	s_mul_hi_u32 s11, s59, s11
	s_mul_hi_u32 s60, s59, s4
	s_add_u32 s11, s11, s61
	s_addc_u32 s60, 0, s60
	s_add_u32 s11, s11, s58
	s_mul_hi_u32 s5, s57, s4
	s_addc_u32 s11, s60, s56
	s_addc_u32 s5, s5, 0
	s_mul_i32 s4, s57, s4
	s_add_u32 s4, s11, s4
	s_addc_u32 s11, 0, s5
	s_add_u32 s56, s59, s4
	s_cselect_b64 s[4:5], -1, 0
	s_cmp_lg_u64 s[4:5], 0
	v_add_co_u32_e32 v3, vcc, v0, v7
	s_addc_u32 s11, s57, s11
	v_xor_b32_e32 v8, v3, v7
	v_mad_u64_u32 v[3:4], s[4:5], v8, s11, 0
	v_mul_hi_u32 v6, v8, s56
	v_addc_co_u32_e32 v5, vcc, v1, v7, vcc
	v_xor_b32_e32 v9, v5, v7
	v_add_co_u32_e32 v10, vcc, v6, v3
	v_addc_co_u32_e32 v11, vcc, 0, v4, vcc
	v_mad_u64_u32 v[3:4], s[4:5], v9, s56, 0
	v_mad_u64_u32 v[5:6], s[4:5], v9, s11, 0
	v_add_co_u32_e32 v3, vcc, v10, v3
	v_addc_co_u32_e32 v3, vcc, v11, v4, vcc
	v_addc_co_u32_e32 v4, vcc, 0, v6, vcc
	v_add_co_u32_e32 v5, vcc, v3, v5
	v_addc_co_u32_e32 v6, vcc, 0, v4, vcc
	v_mul_lo_u32 v10, s55, v5
	v_mul_lo_u32 v11, s54, v6
	v_mad_u64_u32 v[3:4], s[4:5], s54, v5, 0
	v_add3_u32 v4, v4, v11, v10
	v_sub_u32_e32 v10, v9, v4
	v_mov_b32_e32 v11, s55
	v_sub_co_u32_e32 v3, vcc, v8, v3
	v_subb_co_u32_e64 v8, s[4:5], v10, v11, vcc
	v_subrev_co_u32_e64 v10, s[4:5], s54, v3
	v_subbrev_co_u32_e64 v8, s[4:5], 0, v8, s[4:5]
	v_cmp_le_u32_e64 s[4:5], s55, v8
	v_cndmask_b32_e64 v11, 0, -1, s[4:5]
	v_cmp_le_u32_e64 s[4:5], s54, v10
	v_cndmask_b32_e64 v10, 0, -1, s[4:5]
	v_cmp_eq_u32_e64 s[4:5], s55, v8
	v_cndmask_b32_e64 v8, v11, v10, s[4:5]
	v_add_co_u32_e64 v10, s[4:5], 2, v5
	v_subb_co_u32_e32 v4, vcc, v9, v4, vcc
	v_addc_co_u32_e64 v11, s[4:5], 0, v6, s[4:5]
	v_cmp_le_u32_e32 vcc, s55, v4
	v_add_co_u32_e64 v12, s[4:5], 1, v5
	v_cndmask_b32_e64 v9, 0, -1, vcc
	v_cmp_le_u32_e32 vcc, s54, v3
	v_addc_co_u32_e64 v13, s[4:5], 0, v6, s[4:5]
	v_cndmask_b32_e64 v3, 0, -1, vcc
	v_cmp_eq_u32_e32 vcc, s55, v4
	v_cmp_ne_u32_e64 s[4:5], 0, v8
	v_cndmask_b32_e32 v3, v9, v3, vcc
	v_cmp_ne_u32_e32 vcc, 0, v3
	v_cndmask_b32_e64 v4, v12, v10, s[4:5]
	v_cndmask_b32_e64 v8, v13, v11, s[4:5]
	v_cndmask_b32_e32 v4, v5, v4, vcc
	v_xor_b32_e32 v5, s10, v7
	v_cndmask_b32_e32 v3, v6, v8, vcc
	v_xor_b32_e32 v4, v4, v5
	v_xor_b32_e32 v3, v3, v5
	v_sub_co_u32_e32 v6, vcc, v4, v5
	v_subb_co_u32_e32 v7, vcc, v3, v5, vcc
.LBB24_5:                               ;   in Loop: Header=BB24_3 Depth=1
	s_andn2_saveexec_b64 s[4:5], s[6:7]
	s_cbranch_execz .LBB24_7
; %bb.6:                                ;   in Loop: Header=BB24_3 Depth=1
	v_cvt_f32_u32_e32 v3, s22
	s_sub_i32 s6, 0, s22
	v_mov_b32_e32 v7, v2
	v_rcp_iflag_f32_e32 v3, v3
	v_mul_f32_e32 v3, 0x4f7ffffe, v3
	v_cvt_u32_f32_e32 v3, v3
	v_mul_lo_u32 v4, s6, v3
	v_mul_hi_u32 v4, v3, v4
	v_add_u32_e32 v3, v3, v4
	v_mul_hi_u32 v3, v0, v3
	v_mul_lo_u32 v4, v3, s22
	v_add_u32_e32 v5, 1, v3
	v_sub_u32_e32 v4, v0, v4
	v_subrev_u32_e32 v6, s22, v4
	v_cmp_le_u32_e32 vcc, s22, v4
	v_cndmask_b32_e32 v4, v4, v6, vcc
	v_cndmask_b32_e32 v3, v3, v5, vcc
	v_add_u32_e32 v5, 1, v3
	v_cmp_le_u32_e32 vcc, s22, v4
	v_cndmask_b32_e32 v6, v3, v5, vcc
.LBB24_7:                               ;   in Loop: Header=BB24_3 Depth=1
	s_or_b64 exec, exec, s[4:5]
	v_mov_b32_e32 v3, s33
	v_add_co_u32_e32 v10, vcc, s66, v6
	v_addc_co_u32_e32 v11, vcc, v7, v3, vcc
	v_cmp_le_i64_e32 vcc, s[36:37], v[10:11]
	v_mov_b32_e32 v4, 0
	v_mov_b32_e32 v5, 0
	s_and_saveexec_b64 s[6:7], vcc
	s_cbranch_execz .LBB24_13
; %bb.8:                                ;   in Loop: Header=BB24_3 Depth=1
	v_mov_b32_e32 v3, s37
	v_subrev_co_u32_e32 v8, vcc, s36, v10
	v_subb_co_u32_e32 v9, vcc, v11, v3, vcc
	v_or_b32_e32 v3, s67, v9
	v_cmp_ne_u64_e32 vcc, 0, v[2:3]
                                        ; implicit-def: $vgpr4_vgpr5
	s_and_saveexec_b64 s[4:5], vcc
	s_xor_b64 s[10:11], exec, s[4:5]
	s_cbranch_execz .LBB24_10
; %bb.9:                                ;   in Loop: Header=BB24_3 Depth=1
	s_ashr_i32 s54, s67, 31
	s_add_u32 s4, s68, s54
	s_mov_b32 s55, s54
	s_addc_u32 s5, s67, s54
	s_xor_b64 s[56:57], s[4:5], s[54:55]
	v_cvt_f32_u32_e32 v3, s56
	v_cvt_f32_u32_e32 v4, s57
	s_sub_u32 s55, 0, s56
	s_subb_u32 s58, 0, s57
	v_ashrrev_i32_e32 v5, 31, v9
	v_mac_f32_e32 v3, 0x4f800000, v4
	v_rcp_f32_e32 v3, v3
	v_mul_f32_e32 v3, 0x5f7ffffc, v3
	v_mul_f32_e32 v4, 0x2f800000, v3
	v_trunc_f32_e32 v4, v4
	v_mac_f32_e32 v3, 0xcf800000, v4
	v_cvt_u32_f32_e32 v4, v4
	v_cvt_u32_f32_e32 v3, v3
	v_readfirstlane_b32 s59, v4
	v_readfirstlane_b32 s4, v3
	s_mul_i32 s5, s55, s59
	s_mul_hi_u32 s61, s55, s4
	s_mul_i32 s60, s58, s4
	s_add_i32 s5, s61, s5
	s_add_i32 s5, s5, s60
	s_mul_i32 s62, s55, s4
	s_mul_i32 s61, s4, s5
	s_mul_hi_u32 s63, s4, s62
	s_mul_hi_u32 s60, s4, s5
	s_add_u32 s61, s63, s61
	s_addc_u32 s60, 0, s60
	s_mul_hi_u32 s64, s59, s62
	s_mul_i32 s62, s59, s62
	s_add_u32 s61, s61, s62
	s_mul_hi_u32 s63, s59, s5
	s_addc_u32 s60, s60, s64
	s_addc_u32 s61, s63, 0
	s_mul_i32 s5, s59, s5
	s_add_u32 s5, s60, s5
	s_addc_u32 s60, 0, s61
	s_add_u32 s61, s4, s5
	s_cselect_b64 s[4:5], -1, 0
	s_cmp_lg_u64 s[4:5], 0
	s_addc_u32 s59, s59, s60
	s_mul_i32 s4, s55, s59
	s_mul_hi_u32 s5, s55, s61
	s_add_i32 s4, s5, s4
	s_mul_i32 s58, s58, s61
	s_add_i32 s4, s4, s58
	s_mul_i32 s55, s55, s61
	s_mul_hi_u32 s58, s59, s55
	s_mul_i32 s60, s59, s55
	s_mul_i32 s63, s61, s4
	s_mul_hi_u32 s55, s61, s55
	s_mul_hi_u32 s62, s61, s4
	s_add_u32 s55, s55, s63
	s_addc_u32 s62, 0, s62
	s_add_u32 s55, s55, s60
	s_mul_hi_u32 s5, s59, s4
	s_addc_u32 s55, s62, s58
	s_addc_u32 s5, s5, 0
	s_mul_i32 s4, s59, s4
	s_add_u32 s4, s55, s4
	s_addc_u32 s55, 0, s5
	s_add_u32 s58, s61, s4
	s_cselect_b64 s[4:5], -1, 0
	s_cmp_lg_u64 s[4:5], 0
	v_add_co_u32_e32 v3, vcc, v8, v5
	s_addc_u32 s55, s59, s55
	v_xor_b32_e32 v12, v3, v5
	v_addc_co_u32_e32 v8, vcc, v9, v5, vcc
	v_mad_u64_u32 v[3:4], s[4:5], v12, s55, 0
	v_mul_hi_u32 v9, v12, s58
	v_xor_b32_e32 v13, v8, v5
	v_xor_b32_e32 v5, s54, v5
	v_add_co_u32_e32 v14, vcc, v9, v3
	v_addc_co_u32_e32 v15, vcc, 0, v4, vcc
	v_mad_u64_u32 v[3:4], s[4:5], v13, s58, 0
	v_mad_u64_u32 v[8:9], s[4:5], v13, s55, 0
	v_add_co_u32_e32 v3, vcc, v14, v3
	v_addc_co_u32_e32 v3, vcc, v15, v4, vcc
	v_addc_co_u32_e32 v4, vcc, 0, v9, vcc
	v_add_co_u32_e32 v8, vcc, v3, v8
	v_addc_co_u32_e32 v9, vcc, 0, v4, vcc
	v_mul_lo_u32 v14, s57, v8
	v_mul_lo_u32 v15, s56, v9
	v_mad_u64_u32 v[3:4], s[4:5], s56, v8, 0
	v_add3_u32 v4, v4, v15, v14
	v_sub_u32_e32 v14, v13, v4
	v_mov_b32_e32 v15, s57
	v_sub_co_u32_e32 v3, vcc, v12, v3
	v_subb_co_u32_e64 v12, s[4:5], v14, v15, vcc
	v_subrev_co_u32_e64 v14, s[4:5], s56, v3
	v_subbrev_co_u32_e64 v12, s[4:5], 0, v12, s[4:5]
	v_cmp_le_u32_e64 s[4:5], s57, v12
	v_cndmask_b32_e64 v15, 0, -1, s[4:5]
	v_cmp_le_u32_e64 s[4:5], s56, v14
	v_cndmask_b32_e64 v14, 0, -1, s[4:5]
	v_cmp_eq_u32_e64 s[4:5], s57, v12
	v_cndmask_b32_e64 v12, v15, v14, s[4:5]
	v_add_co_u32_e64 v14, s[4:5], 2, v8
	v_subb_co_u32_e32 v4, vcc, v13, v4, vcc
	v_addc_co_u32_e64 v15, s[4:5], 0, v9, s[4:5]
	v_cmp_le_u32_e32 vcc, s57, v4
	v_add_co_u32_e64 v16, s[4:5], 1, v8
	v_cndmask_b32_e64 v13, 0, -1, vcc
	v_cmp_le_u32_e32 vcc, s56, v3
	v_addc_co_u32_e64 v17, s[4:5], 0, v9, s[4:5]
	v_cndmask_b32_e64 v3, 0, -1, vcc
	v_cmp_eq_u32_e32 vcc, s57, v4
	v_cmp_ne_u32_e64 s[4:5], 0, v12
	v_cndmask_b32_e32 v3, v13, v3, vcc
	v_cmp_ne_u32_e32 vcc, 0, v3
	v_cndmask_b32_e64 v4, v16, v14, s[4:5]
	v_cndmask_b32_e64 v12, v17, v15, s[4:5]
	v_cndmask_b32_e32 v4, v8, v4, vcc
	v_cndmask_b32_e32 v3, v9, v12, vcc
	v_xor_b32_e32 v4, v4, v5
	v_xor_b32_e32 v3, v3, v5
	v_sub_co_u32_e32 v4, vcc, v4, v5
	v_subb_co_u32_e32 v5, vcc, v3, v5, vcc
                                        ; implicit-def: $vgpr8
.LBB24_10:                              ;   in Loop: Header=BB24_3 Depth=1
	s_andn2_saveexec_b64 s[4:5], s[10:11]
	s_cbranch_execz .LBB24_12
; %bb.11:                               ;   in Loop: Header=BB24_3 Depth=1
	v_cvt_f32_u32_e32 v3, s68
	s_sub_i32 s10, 0, s68
	v_rcp_iflag_f32_e32 v3, v3
	v_mul_f32_e32 v3, 0x4f7ffffe, v3
	v_cvt_u32_f32_e32 v3, v3
	v_mul_lo_u32 v4, s10, v3
	v_mul_hi_u32 v4, v3, v4
	v_add_u32_e32 v3, v3, v4
	v_mul_hi_u32 v3, v8, v3
	v_mul_lo_u32 v4, v3, s68
	v_add_u32_e32 v5, 1, v3
	v_sub_u32_e32 v4, v8, v4
	v_subrev_u32_e32 v8, s68, v4
	v_cmp_le_u32_e32 vcc, s68, v4
	v_cndmask_b32_e32 v4, v4, v8, vcc
	v_cndmask_b32_e32 v3, v3, v5, vcc
	v_add_u32_e32 v5, 1, v3
	v_cmp_le_u32_e32 vcc, s68, v4
	v_cndmask_b32_e32 v4, v3, v5, vcc
	v_mov_b32_e32 v5, v2
.LBB24_12:                              ;   in Loop: Header=BB24_3 Depth=1
	s_or_b64 exec, exec, s[4:5]
	v_add_co_u32_e32 v4, vcc, 1, v4
	v_addc_co_u32_e32 v5, vcc, 0, v5, vcc
.LBB24_13:                              ;   in Loop: Header=BB24_3 Depth=1
	s_or_b64 exec, exec, s[6:7]
	v_or_b32_e32 v3, s67, v11
	v_cmp_ne_u64_e32 vcc, 0, v[2:3]
                                        ; implicit-def: $vgpr8_vgpr9
	s_and_saveexec_b64 s[4:5], vcc
	s_xor_b64 s[6:7], exec, s[4:5]
	s_cbranch_execz .LBB24_15
; %bb.14:                               ;   in Loop: Header=BB24_3 Depth=1
	s_ashr_i32 s10, s67, 31
	s_add_u32 s4, s68, s10
	s_mov_b32 s11, s10
	s_addc_u32 s5, s67, s10
	s_xor_b64 s[54:55], s[4:5], s[10:11]
	v_cvt_f32_u32_e32 v3, s54
	v_cvt_f32_u32_e32 v8, s55
	s_sub_u32 s11, 0, s54
	s_subb_u32 s56, 0, s55
	v_mac_f32_e32 v3, 0x4f800000, v8
	v_rcp_f32_e32 v3, v3
	v_mul_f32_e32 v3, 0x5f7ffffc, v3
	v_mul_f32_e32 v8, 0x2f800000, v3
	v_trunc_f32_e32 v8, v8
	v_mac_f32_e32 v3, 0xcf800000, v8
	v_cvt_u32_f32_e32 v8, v8
	v_cvt_u32_f32_e32 v3, v3
	v_readfirstlane_b32 s57, v8
	v_readfirstlane_b32 s4, v3
	s_mul_i32 s5, s11, s57
	s_mul_hi_u32 s59, s11, s4
	s_mul_i32 s58, s56, s4
	s_add_i32 s5, s59, s5
	s_add_i32 s5, s5, s58
	s_mul_i32 s60, s11, s4
	s_mul_i32 s59, s4, s5
	s_mul_hi_u32 s61, s4, s60
	s_mul_hi_u32 s58, s4, s5
	s_add_u32 s59, s61, s59
	s_addc_u32 s58, 0, s58
	s_mul_hi_u32 s62, s57, s60
	s_mul_i32 s60, s57, s60
	s_add_u32 s59, s59, s60
	s_mul_hi_u32 s61, s57, s5
	s_addc_u32 s58, s58, s62
	s_addc_u32 s59, s61, 0
	s_mul_i32 s5, s57, s5
	s_add_u32 s5, s58, s5
	s_addc_u32 s58, 0, s59
	s_add_u32 s59, s4, s5
	s_cselect_b64 s[4:5], -1, 0
	s_cmp_lg_u64 s[4:5], 0
	s_addc_u32 s57, s57, s58
	s_mul_i32 s4, s11, s57
	s_mul_hi_u32 s5, s11, s59
	s_add_i32 s4, s5, s4
	s_mul_i32 s56, s56, s59
	s_add_i32 s4, s4, s56
	s_mul_i32 s11, s11, s59
	s_mul_hi_u32 s56, s57, s11
	s_mul_i32 s58, s57, s11
	s_mul_i32 s61, s59, s4
	s_mul_hi_u32 s11, s59, s11
	s_mul_hi_u32 s60, s59, s4
	s_add_u32 s11, s11, s61
	s_addc_u32 s60, 0, s60
	s_add_u32 s11, s11, s58
	s_mul_hi_u32 s5, s57, s4
	s_addc_u32 s11, s60, s56
	s_addc_u32 s5, s5, 0
	s_mul_i32 s4, s57, s4
	s_add_u32 s4, s11, s4
	s_addc_u32 s11, 0, s5
	s_add_u32 s56, s59, s4
	s_cselect_b64 s[4:5], -1, 0
	v_ashrrev_i32_e32 v3, 31, v11
	s_cmp_lg_u64 s[4:5], 0
	v_add_co_u32_e32 v8, vcc, v10, v3
	s_addc_u32 s11, s57, s11
	v_xor_b32_e32 v12, v8, v3
	v_addc_co_u32_e32 v10, vcc, v11, v3, vcc
	v_mad_u64_u32 v[8:9], s[4:5], v12, s11, 0
	v_mul_hi_u32 v11, v12, s56
	v_xor_b32_e32 v13, v10, v3
	v_xor_b32_e32 v3, s10, v3
	v_add_co_u32_e32 v14, vcc, v11, v8
	v_addc_co_u32_e32 v15, vcc, 0, v9, vcc
	v_mad_u64_u32 v[8:9], s[4:5], v13, s56, 0
	v_mad_u64_u32 v[10:11], s[4:5], v13, s11, 0
	v_add_co_u32_e32 v8, vcc, v14, v8
	v_addc_co_u32_e32 v8, vcc, v15, v9, vcc
	v_addc_co_u32_e32 v9, vcc, 0, v11, vcc
	v_add_co_u32_e32 v10, vcc, v8, v10
	v_addc_co_u32_e32 v11, vcc, 0, v9, vcc
	v_mul_lo_u32 v14, s55, v10
	v_mul_lo_u32 v15, s54, v11
	v_mad_u64_u32 v[8:9], s[4:5], s54, v10, 0
	v_add3_u32 v9, v9, v15, v14
	v_sub_u32_e32 v14, v13, v9
	v_mov_b32_e32 v15, s55
	v_sub_co_u32_e32 v8, vcc, v12, v8
	v_subb_co_u32_e64 v12, s[4:5], v14, v15, vcc
	v_subrev_co_u32_e64 v14, s[4:5], s54, v8
	v_subbrev_co_u32_e64 v12, s[4:5], 0, v12, s[4:5]
	v_cmp_le_u32_e64 s[4:5], s55, v12
	v_cndmask_b32_e64 v15, 0, -1, s[4:5]
	v_cmp_le_u32_e64 s[4:5], s54, v14
	v_cndmask_b32_e64 v14, 0, -1, s[4:5]
	v_cmp_eq_u32_e64 s[4:5], s55, v12
	v_cndmask_b32_e64 v12, v15, v14, s[4:5]
	v_add_co_u32_e64 v14, s[4:5], 2, v10
	v_subb_co_u32_e32 v9, vcc, v13, v9, vcc
	v_addc_co_u32_e64 v15, s[4:5], 0, v11, s[4:5]
	v_cmp_le_u32_e32 vcc, s55, v9
	v_add_co_u32_e64 v16, s[4:5], 1, v10
	v_cndmask_b32_e64 v13, 0, -1, vcc
	v_cmp_le_u32_e32 vcc, s54, v8
	v_addc_co_u32_e64 v17, s[4:5], 0, v11, s[4:5]
	v_cndmask_b32_e64 v8, 0, -1, vcc
	v_cmp_eq_u32_e32 vcc, s55, v9
	v_cmp_ne_u32_e64 s[4:5], 0, v12
	v_cndmask_b32_e32 v8, v13, v8, vcc
	v_cndmask_b32_e64 v12, v17, v15, s[4:5]
	v_cmp_ne_u32_e32 vcc, 0, v8
	v_cndmask_b32_e64 v9, v16, v14, s[4:5]
	v_cndmask_b32_e32 v8, v11, v12, vcc
	v_cndmask_b32_e32 v9, v10, v9, vcc
	v_xor_b32_e32 v10, v8, v3
	v_xor_b32_e32 v8, v9, v3
	v_sub_co_u32_e32 v8, vcc, v8, v3
	v_subb_co_u32_e32 v9, vcc, v10, v3, vcc
                                        ; implicit-def: $vgpr10
.LBB24_15:                              ;   in Loop: Header=BB24_3 Depth=1
	s_andn2_saveexec_b64 s[4:5], s[6:7]
	s_cbranch_execz .LBB24_17
; %bb.16:                               ;   in Loop: Header=BB24_3 Depth=1
	v_cvt_f32_u32_e32 v3, s68
	s_sub_i32 s6, 0, s68
	v_rcp_iflag_f32_e32 v3, v3
	v_mul_f32_e32 v3, 0x4f7ffffe, v3
	v_cvt_u32_f32_e32 v3, v3
	v_mul_lo_u32 v8, s6, v3
	v_mul_hi_u32 v8, v3, v8
	v_add_u32_e32 v3, v3, v8
	v_mul_hi_u32 v3, v10, v3
	v_mul_lo_u32 v8, v3, s68
	v_add_u32_e32 v9, 1, v3
	v_sub_u32_e32 v8, v10, v8
	v_subrev_u32_e32 v10, s68, v8
	v_cmp_le_u32_e32 vcc, s68, v8
	v_cndmask_b32_e32 v8, v8, v10, vcc
	v_cndmask_b32_e32 v3, v3, v9, vcc
	v_add_u32_e32 v9, 1, v3
	v_cmp_le_u32_e32 vcc, s68, v8
	v_cndmask_b32_e32 v8, v3, v9, vcc
	v_mov_b32_e32 v9, v2
.LBB24_17:                              ;   in Loop: Header=BB24_3 Depth=1
	s_or_b64 exec, exec, s[4:5]
	v_mul_lo_u32 v3, v7, s22
	v_mul_lo_u32 v10, v6, s23
	v_mad_u64_u32 v[6:7], s[4:5], v6, s22, 0
	v_add3_u32 v3, v7, v10, v3
	v_sub_co_u32_e32 v6, vcc, v0, v6
	v_subb_co_u32_e32 v3, vcc, v1, v3, vcc
	v_mov_b32_e32 v7, s69
	v_add_co_u32_e32 v10, vcc, s70, v6
	v_addc_co_u32_e32 v11, vcc, v3, v7, vcc
	v_cmp_le_i64_e32 vcc, s[38:39], v[10:11]
	v_mov_b32_e32 v6, 0
	v_mov_b32_e32 v7, 0
	s_and_saveexec_b64 s[6:7], vcc
	s_cbranch_execz .LBB24_23
; %bb.18:                               ;   in Loop: Header=BB24_3 Depth=1
	v_mov_b32_e32 v3, s39
	v_subrev_co_u32_e32 v12, vcc, s38, v10
	v_subb_co_u32_e32 v13, vcc, v11, v3, vcc
	v_or_b32_e32 v3, s71, v13
	v_cmp_ne_u64_e32 vcc, 0, v[2:3]
                                        ; implicit-def: $vgpr6_vgpr7
	s_and_saveexec_b64 s[4:5], vcc
	s_xor_b64 s[10:11], exec, s[4:5]
	s_cbranch_execz .LBB24_20
; %bb.19:                               ;   in Loop: Header=BB24_3 Depth=1
	s_ashr_i32 s54, s71, 31
	s_add_u32 s4, s72, s54
	s_mov_b32 s55, s54
	s_addc_u32 s5, s71, s54
	s_xor_b64 s[56:57], s[4:5], s[54:55]
	v_cvt_f32_u32_e32 v3, s56
	v_cvt_f32_u32_e32 v6, s57
	s_sub_u32 s55, 0, s56
	s_subb_u32 s58, 0, s57
	v_mac_f32_e32 v3, 0x4f800000, v6
	v_rcp_f32_e32 v3, v3
	v_mul_f32_e32 v3, 0x5f7ffffc, v3
	v_mul_f32_e32 v6, 0x2f800000, v3
	v_trunc_f32_e32 v6, v6
	v_mac_f32_e32 v3, 0xcf800000, v6
	v_cvt_u32_f32_e32 v6, v6
	v_cvt_u32_f32_e32 v3, v3
	v_readfirstlane_b32 s59, v6
	v_readfirstlane_b32 s4, v3
	s_mul_i32 s5, s55, s59
	s_mul_hi_u32 s61, s55, s4
	s_mul_i32 s60, s58, s4
	s_add_i32 s5, s61, s5
	s_add_i32 s5, s5, s60
	s_mul_i32 s62, s55, s4
	s_mul_i32 s61, s4, s5
	s_mul_hi_u32 s63, s4, s62
	s_mul_hi_u32 s60, s4, s5
	s_add_u32 s61, s63, s61
	s_addc_u32 s60, 0, s60
	s_mul_hi_u32 s64, s59, s62
	s_mul_i32 s62, s59, s62
	s_add_u32 s61, s61, s62
	s_mul_hi_u32 s63, s59, s5
	s_addc_u32 s60, s60, s64
	s_addc_u32 s61, s63, 0
	s_mul_i32 s5, s59, s5
	s_add_u32 s5, s60, s5
	s_addc_u32 s60, 0, s61
	s_add_u32 s61, s4, s5
	s_cselect_b64 s[4:5], -1, 0
	s_cmp_lg_u64 s[4:5], 0
	s_addc_u32 s59, s59, s60
	s_mul_i32 s4, s55, s59
	s_mul_hi_u32 s5, s55, s61
	s_add_i32 s4, s5, s4
	s_mul_i32 s58, s58, s61
	s_add_i32 s4, s4, s58
	s_mul_i32 s55, s55, s61
	s_mul_hi_u32 s58, s59, s55
	s_mul_i32 s60, s59, s55
	s_mul_i32 s63, s61, s4
	s_mul_hi_u32 s55, s61, s55
	s_mul_hi_u32 s62, s61, s4
	s_add_u32 s55, s55, s63
	s_addc_u32 s62, 0, s62
	s_add_u32 s55, s55, s60
	s_mul_hi_u32 s5, s59, s4
	s_addc_u32 s55, s62, s58
	s_addc_u32 s5, s5, 0
	s_mul_i32 s4, s59, s4
	s_add_u32 s4, s55, s4
	s_addc_u32 s55, 0, s5
	s_add_u32 s58, s61, s4
	s_cselect_b64 s[4:5], -1, 0
	v_ashrrev_i32_e32 v3, 31, v13
	s_cmp_lg_u64 s[4:5], 0
	v_add_co_u32_e32 v6, vcc, v12, v3
	s_addc_u32 s55, s59, s55
	v_xor_b32_e32 v14, v6, v3
	v_addc_co_u32_e32 v12, vcc, v13, v3, vcc
	v_mad_u64_u32 v[6:7], s[4:5], v14, s55, 0
	v_mul_hi_u32 v13, v14, s58
	v_xor_b32_e32 v15, v12, v3
	v_xor_b32_e32 v3, s54, v3
	v_add_co_u32_e32 v16, vcc, v13, v6
	v_addc_co_u32_e32 v17, vcc, 0, v7, vcc
	v_mad_u64_u32 v[6:7], s[4:5], v15, s58, 0
	v_mad_u64_u32 v[12:13], s[4:5], v15, s55, 0
	v_add_co_u32_e32 v6, vcc, v16, v6
	v_addc_co_u32_e32 v6, vcc, v17, v7, vcc
	v_addc_co_u32_e32 v7, vcc, 0, v13, vcc
	v_add_co_u32_e32 v12, vcc, v6, v12
	v_addc_co_u32_e32 v13, vcc, 0, v7, vcc
	v_mul_lo_u32 v16, s57, v12
	v_mul_lo_u32 v17, s56, v13
	v_mad_u64_u32 v[6:7], s[4:5], s56, v12, 0
	v_add3_u32 v7, v7, v17, v16
	v_sub_u32_e32 v16, v15, v7
	v_mov_b32_e32 v17, s57
	v_sub_co_u32_e32 v6, vcc, v14, v6
	v_subb_co_u32_e64 v14, s[4:5], v16, v17, vcc
	v_subrev_co_u32_e64 v16, s[4:5], s56, v6
	v_subbrev_co_u32_e64 v14, s[4:5], 0, v14, s[4:5]
	v_cmp_le_u32_e64 s[4:5], s57, v14
	v_cndmask_b32_e64 v17, 0, -1, s[4:5]
	v_cmp_le_u32_e64 s[4:5], s56, v16
	v_cndmask_b32_e64 v16, 0, -1, s[4:5]
	v_cmp_eq_u32_e64 s[4:5], s57, v14
	v_cndmask_b32_e64 v14, v17, v16, s[4:5]
	v_add_co_u32_e64 v16, s[4:5], 2, v12
	v_subb_co_u32_e32 v7, vcc, v15, v7, vcc
	v_addc_co_u32_e64 v17, s[4:5], 0, v13, s[4:5]
	v_cmp_le_u32_e32 vcc, s57, v7
	v_add_co_u32_e64 v18, s[4:5], 1, v12
	v_cndmask_b32_e64 v15, 0, -1, vcc
	v_cmp_le_u32_e32 vcc, s56, v6
	v_addc_co_u32_e64 v19, s[4:5], 0, v13, s[4:5]
	v_cndmask_b32_e64 v6, 0, -1, vcc
	v_cmp_eq_u32_e32 vcc, s57, v7
	v_cmp_ne_u32_e64 s[4:5], 0, v14
	v_cndmask_b32_e32 v6, v15, v6, vcc
	v_cndmask_b32_e64 v14, v19, v17, s[4:5]
	v_cmp_ne_u32_e32 vcc, 0, v6
	v_cndmask_b32_e64 v7, v18, v16, s[4:5]
	v_cndmask_b32_e32 v6, v13, v14, vcc
	v_cndmask_b32_e32 v7, v12, v7, vcc
	v_xor_b32_e32 v12, v6, v3
	v_xor_b32_e32 v6, v7, v3
	v_sub_co_u32_e32 v6, vcc, v6, v3
	v_subb_co_u32_e32 v7, vcc, v12, v3, vcc
                                        ; implicit-def: $vgpr12
.LBB24_20:                              ;   in Loop: Header=BB24_3 Depth=1
	s_andn2_saveexec_b64 s[4:5], s[10:11]
	s_cbranch_execz .LBB24_22
; %bb.21:                               ;   in Loop: Header=BB24_3 Depth=1
	v_cvt_f32_u32_e32 v3, s72
	s_sub_i32 s10, 0, s72
	v_rcp_iflag_f32_e32 v3, v3
	v_mul_f32_e32 v3, 0x4f7ffffe, v3
	v_cvt_u32_f32_e32 v3, v3
	v_mul_lo_u32 v6, s10, v3
	v_mul_hi_u32 v6, v3, v6
	v_add_u32_e32 v3, v3, v6
	v_mul_hi_u32 v3, v12, v3
	v_mul_lo_u32 v6, v3, s72
	v_add_u32_e32 v7, 1, v3
	v_sub_u32_e32 v6, v12, v6
	v_subrev_u32_e32 v12, s72, v6
	v_cmp_le_u32_e32 vcc, s72, v6
	v_cndmask_b32_e32 v6, v6, v12, vcc
	v_cndmask_b32_e32 v3, v3, v7, vcc
	v_add_u32_e32 v7, 1, v3
	v_cmp_le_u32_e32 vcc, s72, v6
	v_cndmask_b32_e32 v6, v3, v7, vcc
	v_mov_b32_e32 v7, v2
.LBB24_22:                              ;   in Loop: Header=BB24_3 Depth=1
	s_or_b64 exec, exec, s[4:5]
	v_add_co_u32_e32 v6, vcc, 1, v6
	v_addc_co_u32_e32 v7, vcc, 0, v7, vcc
.LBB24_23:                              ;   in Loop: Header=BB24_3 Depth=1
	s_or_b64 exec, exec, s[6:7]
	v_or_b32_e32 v3, s71, v11
	v_cmp_ne_u64_e32 vcc, 0, v[2:3]
                                        ; implicit-def: $vgpr12_vgpr13
	s_and_saveexec_b64 s[4:5], vcc
	s_xor_b64 s[6:7], exec, s[4:5]
	s_cbranch_execnz .LBB24_26
; %bb.24:                               ;   in Loop: Header=BB24_3 Depth=1
	s_andn2_saveexec_b64 s[4:5], s[6:7]
	s_cbranch_execnz .LBB24_27
.LBB24_25:                              ;   in Loop: Header=BB24_3 Depth=1
	s_or_b64 exec, exec, s[4:5]
	s_andn2_b64 vcc, exec, s[0:1]
	s_cbranch_vccnz .LBB24_2
	s_branch .LBB24_28
.LBB24_26:                              ;   in Loop: Header=BB24_3 Depth=1
	s_ashr_i32 s10, s71, 31
	s_add_u32 s4, s72, s10
	s_mov_b32 s11, s10
	s_addc_u32 s5, s71, s10
	s_xor_b64 s[54:55], s[4:5], s[10:11]
	v_cvt_f32_u32_e32 v3, s54
	v_cvt_f32_u32_e32 v12, s55
	s_sub_u32 s11, 0, s54
	s_subb_u32 s56, 0, s55
	v_mac_f32_e32 v3, 0x4f800000, v12
	v_rcp_f32_e32 v3, v3
	v_mul_f32_e32 v3, 0x5f7ffffc, v3
	v_mul_f32_e32 v12, 0x2f800000, v3
	v_trunc_f32_e32 v12, v12
	v_mac_f32_e32 v3, 0xcf800000, v12
	v_cvt_u32_f32_e32 v12, v12
	v_cvt_u32_f32_e32 v3, v3
	v_readfirstlane_b32 s57, v12
	v_readfirstlane_b32 s4, v3
	s_mul_i32 s5, s11, s57
	s_mul_hi_u32 s59, s11, s4
	s_mul_i32 s58, s56, s4
	s_add_i32 s5, s59, s5
	s_add_i32 s5, s5, s58
	s_mul_i32 s60, s11, s4
	s_mul_i32 s59, s4, s5
	s_mul_hi_u32 s61, s4, s60
	s_mul_hi_u32 s58, s4, s5
	s_add_u32 s59, s61, s59
	s_addc_u32 s58, 0, s58
	s_mul_hi_u32 s62, s57, s60
	s_mul_i32 s60, s57, s60
	s_add_u32 s59, s59, s60
	s_mul_hi_u32 s61, s57, s5
	s_addc_u32 s58, s58, s62
	s_addc_u32 s59, s61, 0
	s_mul_i32 s5, s57, s5
	s_add_u32 s5, s58, s5
	s_addc_u32 s58, 0, s59
	s_add_u32 s59, s4, s5
	s_cselect_b64 s[4:5], -1, 0
	s_cmp_lg_u64 s[4:5], 0
	s_addc_u32 s57, s57, s58
	s_mul_i32 s4, s11, s57
	s_mul_hi_u32 s5, s11, s59
	s_add_i32 s4, s5, s4
	s_mul_i32 s56, s56, s59
	s_add_i32 s4, s4, s56
	s_mul_i32 s11, s11, s59
	s_mul_hi_u32 s56, s57, s11
	s_mul_i32 s58, s57, s11
	s_mul_i32 s61, s59, s4
	s_mul_hi_u32 s11, s59, s11
	s_mul_hi_u32 s60, s59, s4
	s_add_u32 s11, s11, s61
	s_addc_u32 s60, 0, s60
	s_add_u32 s11, s11, s58
	s_mul_hi_u32 s5, s57, s4
	s_addc_u32 s11, s60, s56
	s_addc_u32 s5, s5, 0
	s_mul_i32 s4, s57, s4
	s_add_u32 s4, s11, s4
	s_addc_u32 s11, 0, s5
	s_add_u32 s56, s59, s4
	s_cselect_b64 s[4:5], -1, 0
	v_ashrrev_i32_e32 v3, 31, v11
	s_cmp_lg_u64 s[4:5], 0
	v_add_co_u32_e32 v10, vcc, v10, v3
	s_addc_u32 s11, s57, s11
	v_xor_b32_e32 v14, v10, v3
	v_addc_co_u32_e32 v12, vcc, v11, v3, vcc
	v_mad_u64_u32 v[10:11], s[4:5], v14, s11, 0
	v_mul_hi_u32 v13, v14, s56
	v_xor_b32_e32 v15, v12, v3
	v_xor_b32_e32 v3, s10, v3
	v_add_co_u32_e32 v16, vcc, v13, v10
	v_addc_co_u32_e32 v17, vcc, 0, v11, vcc
	v_mad_u64_u32 v[10:11], s[4:5], v15, s56, 0
	v_mad_u64_u32 v[12:13], s[4:5], v15, s11, 0
	v_add_co_u32_e32 v10, vcc, v16, v10
	v_addc_co_u32_e32 v10, vcc, v17, v11, vcc
	v_addc_co_u32_e32 v11, vcc, 0, v13, vcc
	v_add_co_u32_e32 v12, vcc, v10, v12
	v_addc_co_u32_e32 v13, vcc, 0, v11, vcc
	v_mul_lo_u32 v16, s55, v12
	v_mul_lo_u32 v17, s54, v13
	v_mad_u64_u32 v[10:11], s[4:5], s54, v12, 0
	v_add3_u32 v11, v11, v17, v16
	v_sub_u32_e32 v16, v15, v11
	v_mov_b32_e32 v17, s55
	v_sub_co_u32_e32 v10, vcc, v14, v10
	v_subb_co_u32_e64 v14, s[4:5], v16, v17, vcc
	v_subrev_co_u32_e64 v16, s[4:5], s54, v10
	v_subbrev_co_u32_e64 v14, s[4:5], 0, v14, s[4:5]
	v_cmp_le_u32_e64 s[4:5], s55, v14
	v_cndmask_b32_e64 v17, 0, -1, s[4:5]
	v_cmp_le_u32_e64 s[4:5], s54, v16
	v_cndmask_b32_e64 v16, 0, -1, s[4:5]
	v_cmp_eq_u32_e64 s[4:5], s55, v14
	v_cndmask_b32_e64 v14, v17, v16, s[4:5]
	v_add_co_u32_e64 v16, s[4:5], 2, v12
	v_subb_co_u32_e32 v11, vcc, v15, v11, vcc
	v_addc_co_u32_e64 v17, s[4:5], 0, v13, s[4:5]
	v_cmp_le_u32_e32 vcc, s55, v11
	v_add_co_u32_e64 v18, s[4:5], 1, v12
	v_cndmask_b32_e64 v15, 0, -1, vcc
	v_cmp_le_u32_e32 vcc, s54, v10
	v_addc_co_u32_e64 v19, s[4:5], 0, v13, s[4:5]
	v_cndmask_b32_e64 v10, 0, -1, vcc
	v_cmp_eq_u32_e32 vcc, s55, v11
	v_cmp_ne_u32_e64 s[4:5], 0, v14
	v_cndmask_b32_e32 v10, v15, v10, vcc
	v_cmp_ne_u32_e32 vcc, 0, v10
	v_cndmask_b32_e64 v11, v18, v16, s[4:5]
	v_cndmask_b32_e64 v14, v19, v17, s[4:5]
	v_cndmask_b32_e32 v11, v12, v11, vcc
	v_cndmask_b32_e32 v10, v13, v14, vcc
	v_xor_b32_e32 v11, v11, v3
	v_xor_b32_e32 v10, v10, v3
	v_sub_co_u32_e32 v12, vcc, v11, v3
	v_subb_co_u32_e32 v13, vcc, v10, v3, vcc
                                        ; implicit-def: $vgpr10
	s_andn2_saveexec_b64 s[4:5], s[6:7]
	s_cbranch_execz .LBB24_25
.LBB24_27:                              ;   in Loop: Header=BB24_3 Depth=1
	v_cvt_f32_u32_e32 v3, s72
	s_sub_i32 s6, 0, s72
	v_mov_b32_e32 v13, v2
	v_rcp_iflag_f32_e32 v3, v3
	v_mul_f32_e32 v3, 0x4f7ffffe, v3
	v_cvt_u32_f32_e32 v3, v3
	v_mul_lo_u32 v11, s6, v3
	v_mul_hi_u32 v11, v3, v11
	v_add_u32_e32 v3, v3, v11
	v_mul_hi_u32 v3, v10, v3
	v_mul_lo_u32 v11, v3, s72
	v_add_u32_e32 v12, 1, v3
	v_sub_u32_e32 v10, v10, v11
	v_subrev_u32_e32 v11, s72, v10
	v_cmp_le_u32_e32 vcc, s72, v10
	v_cndmask_b32_e32 v10, v10, v11, vcc
	v_cndmask_b32_e32 v3, v3, v12, vcc
	v_add_u32_e32 v11, 1, v3
	v_cmp_le_u32_e32 vcc, s72, v10
	v_cndmask_b32_e32 v12, v3, v11, vcc
	s_or_b64 exec, exec, s[4:5]
	s_andn2_b64 vcc, exec, s[0:1]
	s_cbranch_vccnz .LBB24_2
.LBB24_28:                              ;   in Loop: Header=BB24_3 Depth=1
	v_add_co_u32_e32 v10, vcc, 1, v12
	v_addc_co_u32_e32 v11, vcc, 0, v13, vcc
	v_cmp_gt_i64_e32 vcc, s[26:27], v[10:11]
	v_mov_b32_e32 v3, s27
	v_cndmask_b32_e32 v11, v3, v11, vcc
	v_mov_b32_e32 v3, s26
	v_cndmask_b32_e32 v10, v3, v10, vcc
	v_add_co_u32_e32 v8, vcc, 1, v8
	v_addc_co_u32_e32 v9, vcc, 0, v9, vcc
	v_cmp_gt_i64_e32 vcc, s[24:25], v[8:9]
	v_mov_b32_e32 v3, s25
	v_lshlrev_b64 v[12:13], 1, v[0:1]
	v_cndmask_b32_e32 v9, v3, v9, vcc
	v_mov_b32_e32 v3, s24
	v_cndmask_b32_e32 v8, v3, v8, vcc
	v_mov_b32_e32 v14, s35
	v_add_co_u32_e32 v3, vcc, s34, v12
	v_addc_co_u32_e32 v32, vcc, v14, v13, vcc
	v_mov_b32_e32 v12, s74
	v_add_co_u32_e32 v13, vcc, s75, v4
	v_addc_co_u32_e32 v12, vcc, v12, v5, vcc
	v_mul_lo_u32 v12, s26, v12
	v_mul_lo_u32 v16, s27, v13
	v_mad_u64_u32 v[14:15], s[4:5], s26, v13, v[6:7]
	s_load_dword s76, s[30:31], 0x4
	v_cmp_lt_i64_e64 s[4:5], v[4:5], v[8:9]
	v_add3_u32 v15, v16, v15, v12
	v_lshlrev_b64 v[12:13], 3, v[14:15]
	v_mov_b32_e32 v16, s15
	v_add_co_u32_e32 v12, vcc, s14, v12
	v_lshlrev_b64 v[14:15], 1, v[14:15]
	v_addc_co_u32_e32 v13, vcc, v16, v13, vcc
	s_waitcnt lgkmcnt(0)
	s_mul_i32 s10, s41, s76
	s_mul_hi_u32 s11, s40, s76
	v_cmp_lt_i64_e64 s[6:7], v[6:7], v[10:11]
	s_add_i32 s77, s11, s10
	v_mov_b32_e32 v16, s13
	v_add_co_u32_e32 v14, vcc, s12, v14
	s_mul_i32 s10, s47, s76
	s_mul_hi_u32 s11, s46, s76
	s_mul_i32 s78, s40, s76
	v_addc_co_u32_e32 v15, vcc, v16, v15, vcc
	s_add_i32 s79, s11, s10
	s_mul_i32 s80, s46, s76
	s_mov_b64 s[54:55], s[28:29]
	s_branch .LBB24_30
.LBB24_29:                              ;   in Loop: Header=BB24_30 Depth=2
	v_mov_b32_e32 v16, s77
	v_add_co_u32_e32 v12, vcc, s78, v12
	s_add_u32 s54, s54, s76
	v_addc_co_u32_e32 v13, vcc, v13, v16, vcc
	v_mov_b32_e32 v16, s16
	s_addc_u32 s55, s55, 0
	v_mov_b32_e32 v17, s17
	v_cmp_ge_i64_e32 vcc, s[54:55], v[16:17]
	v_mov_b32_e32 v18, s79
	v_add_co_u32_e64 v14, s[10:11], s80, v14
	v_addc_co_u32_e64 v15, s[10:11], v15, v18, s[10:11]
	s_cbranch_vccnz .LBB24_2
.LBB24_30:                              ;   Parent Loop BB24_3 Depth=1
                                        ; =>  This Loop Header: Depth=2
                                        ;       Child Loop BB24_34 Depth 3
                                        ;         Child Loop BB24_38 Depth 4
                                        ;           Child Loop BB24_41 Depth 5
	s_andn2_b64 vcc, exec, s[2:3]
	s_cbranch_vccnz .LBB24_29
; %bb.31:                               ;   in Loop: Header=BB24_30 Depth=2
	s_load_dword s81, s[30:31], 0x8
	s_mul_i32 s10, s54, s19
	s_mul_hi_u32 s11, s54, s18
	s_add_i32 s10, s11, s10
	s_mul_i32 s11, s55, s18
	s_add_i32 s82, s10, s11
	s_waitcnt lgkmcnt(0)
	s_mul_i32 s10, s43, s81
	s_mul_hi_u32 s11, s42, s81
	s_add_i32 s84, s11, s10
	s_mul_i32 s10, s49, s81
	s_mul_hi_u32 s11, s48, s81
	v_mov_b32_e32 v17, v15
	v_mov_b32_e32 v19, v13
	s_mul_i32 s83, s54, s18
	s_mul_i32 s85, s42, s81
	s_add_i32 s86, s11, s10
	s_mul_i32 s87, s48, s81
	v_mov_b32_e32 v16, v14
	v_mov_b32_e32 v18, v12
	s_mov_b64 s[56:57], s[8:9]
	s_branch .LBB24_34
.LBB24_32:                              ;   in Loop: Header=BB24_34 Depth=3
	s_or_b64 exec, exec, s[60:61]
	v_cvt_f16_f32_e32 v20, v33
.LBB24_33:                              ;   in Loop: Header=BB24_34 Depth=3
	s_or_b64 exec, exec, s[58:59]
	s_add_u32 s10, s56, s83
	s_addc_u32 s11, s57, s82
	s_mul_i32 s11, s20, s11
	s_mul_hi_u32 s58, s20, s10
	s_add_i32 s11, s58, s11
	s_mul_i32 s58, s21, s10
	s_add_i32 s11, s11, s58
	s_mul_i32 s10, s20, s10
	s_lshl_b64 s[10:11], s[10:11], 1
	v_mov_b32_e32 v22, s11
	v_add_co_u32_e32 v21, vcc, s10, v3
	v_addc_co_u32_e32 v22, vcc, v32, v22, vcc
	global_store_short v[21:22], v20, off
	v_mov_b32_e32 v20, s84
	v_add_co_u32_e32 v18, vcc, s85, v18
	s_add_u32 s56, s56, s81
	v_addc_co_u32_e32 v19, vcc, v19, v20, vcc
	v_mov_b32_e32 v21, s19
	s_addc_u32 s57, s57, 0
	v_mov_b32_e32 v20, s18
	v_cmp_ge_i64_e32 vcc, s[56:57], v[20:21]
	v_mov_b32_e32 v22, s86
	v_add_co_u32_e64 v16, s[10:11], s87, v16
	v_addc_co_u32_e64 v17, s[10:11], v17, v22, s[10:11]
	s_cbranch_vccnz .LBB24_29
.LBB24_34:                              ;   Parent Loop BB24_3 Depth=1
                                        ;     Parent Loop BB24_30 Depth=2
                                        ; =>    This Loop Header: Depth=3
                                        ;         Child Loop BB24_38 Depth 4
                                        ;           Child Loop BB24_41 Depth 5
	v_mov_b32_e32 v20, 0
	s_and_saveexec_b64 s[58:59], s[4:5]
	s_cbranch_execz .LBB24_33
; %bb.35:                               ;   in Loop: Header=BB24_34 Depth=3
	v_mov_b32_e32 v21, v17
	v_mov_b32_e32 v23, v19
	;; [unrolled: 1-line block ×4, first 2 shown]
	s_mov_b64 s[60:61], 0
	v_mov_b32_e32 v20, v16
	v_mov_b32_e32 v22, v18
	;; [unrolled: 1-line block ×3, first 2 shown]
	s_branch .LBB24_38
.LBB24_36:                              ;   in Loop: Header=BB24_38 Depth=4
	s_or_b64 exec, exec, s[64:65]
.LBB24_37:                              ;   in Loop: Header=BB24_38 Depth=4
	s_or_b64 exec, exec, s[62:63]
	v_add_co_u32_e32 v24, vcc, 1, v24
	v_addc_co_u32_e32 v25, vcc, 0, v25, vcc
	v_mov_b32_e32 v26, s45
	v_add_co_u32_e32 v22, vcc, s44, v22
	v_addc_co_u32_e32 v23, vcc, v23, v26, vcc
	v_cmp_ge_i64_e32 vcc, v[24:25], v[8:9]
	v_mov_b32_e32 v26, s51
	s_or_b64 s[60:61], vcc, s[60:61]
	v_add_co_u32_e32 v20, vcc, s50, v20
	v_addc_co_u32_e32 v21, vcc, v21, v26, vcc
	s_andn2_b64 exec, exec, s[60:61]
	s_cbranch_execz .LBB24_32
.LBB24_38:                              ;   Parent Loop BB24_3 Depth=1
                                        ;     Parent Loop BB24_30 Depth=2
                                        ;       Parent Loop BB24_34 Depth=3
                                        ; =>      This Loop Header: Depth=4
                                        ;           Child Loop BB24_41 Depth 5
	s_and_saveexec_b64 s[62:63], s[6:7]
	s_cbranch_execz .LBB24_37
; %bb.39:                               ;   in Loop: Header=BB24_38 Depth=4
	v_mov_b32_e32 v27, v21
	v_mov_b32_e32 v29, v23
	;; [unrolled: 1-line block ×3, first 2 shown]
	s_mov_b64 s[64:65], 0
	v_mov_b32_e32 v26, v20
	v_mov_b32_e32 v28, v22
	;; [unrolled: 1-line block ×3, first 2 shown]
	s_branch .LBB24_41
.LBB24_40:                              ;   in Loop: Header=BB24_41 Depth=5
	s_or_b64 exec, exec, s[10:11]
	v_add_co_u32_e32 v30, vcc, 1, v30
	v_addc_co_u32_e32 v31, vcc, 0, v31, vcc
	v_cmp_ge_i64_e32 vcc, v[30:31], v[10:11]
	v_add_co_u32_e64 v28, s[10:11], 8, v28
	s_or_b64 s[64:65], vcc, s[64:65]
	v_add_co_u32_e32 v26, vcc, 2, v26
	v_addc_co_u32_e64 v29, s[10:11], 0, v29, s[10:11]
	v_addc_co_u32_e32 v27, vcc, 0, v27, vcc
	s_andn2_b64 exec, exec, s[64:65]
	s_cbranch_execz .LBB24_36
.LBB24_41:                              ;   Parent Loop BB24_3 Depth=1
                                        ;     Parent Loop BB24_30 Depth=2
                                        ;       Parent Loop BB24_34 Depth=3
                                        ;         Parent Loop BB24_38 Depth=4
                                        ; =>        This Inner Loop Header: Depth=5
	global_load_dwordx2 v[34:35], v[28:29], off
	s_waitcnt vmcnt(0)
	v_cmp_eq_u64_e32 vcc, v[34:35], v[0:1]
	s_and_saveexec_b64 s[10:11], vcc
	s_cbranch_execz .LBB24_40
; %bb.42:                               ;   in Loop: Header=BB24_41 Depth=5
	global_load_ushort v34, v[26:27], off
	s_waitcnt vmcnt(0)
	v_cvt_f32_f16_e32 v34, v34
	v_add_f32_e32 v33, v33, v34
	s_branch .LBB24_40
.LBB24_43:
	s_endpgm
	.section	.rodata,"a",@progbits
	.p2align	6, 0x0
	.amdhsa_kernel _ZN2at6native12_GLOBAL__N_122max_pool_backward_nchwIN3c104HalfEflEEvPKT_PKlT1_SA_SA_SA_SA_SA_iiiiiiiiPS5_
		.amdhsa_group_segment_fixed_size 0
		.amdhsa_private_segment_fixed_size 0
		.amdhsa_kernarg_size 360
		.amdhsa_user_sgpr_count 6
		.amdhsa_user_sgpr_private_segment_buffer 1
		.amdhsa_user_sgpr_dispatch_ptr 0
		.amdhsa_user_sgpr_queue_ptr 0
		.amdhsa_user_sgpr_kernarg_segment_ptr 1
		.amdhsa_user_sgpr_dispatch_id 0
		.amdhsa_user_sgpr_flat_scratch_init 0
		.amdhsa_user_sgpr_private_segment_size 0
		.amdhsa_uses_dynamic_stack 0
		.amdhsa_system_sgpr_private_segment_wavefront_offset 0
		.amdhsa_system_sgpr_workgroup_id_x 1
		.amdhsa_system_sgpr_workgroup_id_y 1
		.amdhsa_system_sgpr_workgroup_id_z 1
		.amdhsa_system_sgpr_workgroup_info 0
		.amdhsa_system_vgpr_workitem_id 0
		.amdhsa_next_free_vgpr 36
		.amdhsa_next_free_sgpr 88
		.amdhsa_reserve_vcc 1
		.amdhsa_reserve_flat_scratch 0
		.amdhsa_float_round_mode_32 0
		.amdhsa_float_round_mode_16_64 0
		.amdhsa_float_denorm_mode_32 3
		.amdhsa_float_denorm_mode_16_64 3
		.amdhsa_dx10_clamp 1
		.amdhsa_ieee_mode 1
		.amdhsa_fp16_overflow 0
		.amdhsa_exception_fp_ieee_invalid_op 0
		.amdhsa_exception_fp_denorm_src 0
		.amdhsa_exception_fp_ieee_div_zero 0
		.amdhsa_exception_fp_ieee_overflow 0
		.amdhsa_exception_fp_ieee_underflow 0
		.amdhsa_exception_fp_ieee_inexact 0
		.amdhsa_exception_int_div_zero 0
	.end_amdhsa_kernel
	.section	.text._ZN2at6native12_GLOBAL__N_122max_pool_backward_nchwIN3c104HalfEflEEvPKT_PKlT1_SA_SA_SA_SA_SA_iiiiiiiiPS5_,"axG",@progbits,_ZN2at6native12_GLOBAL__N_122max_pool_backward_nchwIN3c104HalfEflEEvPKT_PKlT1_SA_SA_SA_SA_SA_iiiiiiiiPS5_,comdat
.Lfunc_end24:
	.size	_ZN2at6native12_GLOBAL__N_122max_pool_backward_nchwIN3c104HalfEflEEvPKT_PKlT1_SA_SA_SA_SA_SA_iiiiiiiiPS5_, .Lfunc_end24-_ZN2at6native12_GLOBAL__N_122max_pool_backward_nchwIN3c104HalfEflEEvPKT_PKlT1_SA_SA_SA_SA_SA_iiiiiiiiPS5_
                                        ; -- End function
	.set _ZN2at6native12_GLOBAL__N_122max_pool_backward_nchwIN3c104HalfEflEEvPKT_PKlT1_SA_SA_SA_SA_SA_iiiiiiiiPS5_.num_vgpr, 36
	.set _ZN2at6native12_GLOBAL__N_122max_pool_backward_nchwIN3c104HalfEflEEvPKT_PKlT1_SA_SA_SA_SA_SA_iiiiiiiiPS5_.num_agpr, 0
	.set _ZN2at6native12_GLOBAL__N_122max_pool_backward_nchwIN3c104HalfEflEEvPKT_PKlT1_SA_SA_SA_SA_SA_iiiiiiiiPS5_.numbered_sgpr, 88
	.set _ZN2at6native12_GLOBAL__N_122max_pool_backward_nchwIN3c104HalfEflEEvPKT_PKlT1_SA_SA_SA_SA_SA_iiiiiiiiPS5_.num_named_barrier, 0
	.set _ZN2at6native12_GLOBAL__N_122max_pool_backward_nchwIN3c104HalfEflEEvPKT_PKlT1_SA_SA_SA_SA_SA_iiiiiiiiPS5_.private_seg_size, 0
	.set _ZN2at6native12_GLOBAL__N_122max_pool_backward_nchwIN3c104HalfEflEEvPKT_PKlT1_SA_SA_SA_SA_SA_iiiiiiiiPS5_.uses_vcc, 1
	.set _ZN2at6native12_GLOBAL__N_122max_pool_backward_nchwIN3c104HalfEflEEvPKT_PKlT1_SA_SA_SA_SA_SA_iiiiiiiiPS5_.uses_flat_scratch, 0
	.set _ZN2at6native12_GLOBAL__N_122max_pool_backward_nchwIN3c104HalfEflEEvPKT_PKlT1_SA_SA_SA_SA_SA_iiiiiiiiPS5_.has_dyn_sized_stack, 0
	.set _ZN2at6native12_GLOBAL__N_122max_pool_backward_nchwIN3c104HalfEflEEvPKT_PKlT1_SA_SA_SA_SA_SA_iiiiiiiiPS5_.has_recursion, 0
	.set _ZN2at6native12_GLOBAL__N_122max_pool_backward_nchwIN3c104HalfEflEEvPKT_PKlT1_SA_SA_SA_SA_SA_iiiiiiiiPS5_.has_indirect_call, 0
	.section	.AMDGPU.csdata,"",@progbits
; Kernel info:
; codeLenInByte = 5008
; TotalNumSgprs: 92
; NumVgprs: 36
; ScratchSize: 0
; MemoryBound: 0
; FloatMode: 240
; IeeeMode: 1
; LDSByteSize: 0 bytes/workgroup (compile time only)
; SGPRBlocks: 11
; VGPRBlocks: 8
; NumSGPRsForWavesPerEU: 92
; NumVGPRsForWavesPerEU: 36
; Occupancy: 7
; WaveLimiterHint : 0
; COMPUTE_PGM_RSRC2:SCRATCH_EN: 0
; COMPUTE_PGM_RSRC2:USER_SGPR: 6
; COMPUTE_PGM_RSRC2:TRAP_HANDLER: 0
; COMPUTE_PGM_RSRC2:TGID_X_EN: 1
; COMPUTE_PGM_RSRC2:TGID_Y_EN: 1
; COMPUTE_PGM_RSRC2:TGID_Z_EN: 1
; COMPUTE_PGM_RSRC2:TIDIG_COMP_CNT: 0
	.section	.text._ZN2at6native12_GLOBAL__N_122max_pool_backward_nhwcIN3c108BFloat16EfEEvPKT_PKlillliiiiiiiiiiiiiiiPS5_,"axG",@progbits,_ZN2at6native12_GLOBAL__N_122max_pool_backward_nhwcIN3c108BFloat16EfEEvPKT_PKlillliiiiiiiiiiiiiiiPS5_,comdat
	.globl	_ZN2at6native12_GLOBAL__N_122max_pool_backward_nhwcIN3c108BFloat16EfEEvPKT_PKlillliiiiiiiiiiiiiiiPS5_ ; -- Begin function _ZN2at6native12_GLOBAL__N_122max_pool_backward_nhwcIN3c108BFloat16EfEEvPKT_PKlillliiiiiiiiiiiiiiiPS5_
	.p2align	8
	.type	_ZN2at6native12_GLOBAL__N_122max_pool_backward_nhwcIN3c108BFloat16EfEEvPKT_PKlillliiiiiiiiiiiiiiiPS5_,@function
_ZN2at6native12_GLOBAL__N_122max_pool_backward_nhwcIN3c108BFloat16EfEEvPKT_PKlillliiiiiiiiiiiiiiiPS5_: ; @_ZN2at6native12_GLOBAL__N_122max_pool_backward_nhwcIN3c108BFloat16EfEEvPKT_PKlillliiiiiiiiiiiiiiiPS5_
; %bb.0:
	s_load_dword s40, s[4:5], 0x10
	s_load_dwordx4 s[0:3], s[4:5], 0x7c
	s_load_dwordx8 s[12:19], s[4:5], 0x30
	s_load_dwordx8 s[20:27], s[4:5], 0x50
	s_waitcnt lgkmcnt(0)
	v_cvt_f32_u32_e32 v3, s40
	s_lshr_b32 s58, s2, 16
	s_and_b32 s9, s2, 0xffff
	v_mad_u32_u24 v5, v2, s58, v1
	v_rcp_iflag_f32_e32 v3, v3
	s_and_b32 s33, s3, 0xffff
	v_mul_f32_e32 v3, 0x4f7ffffe, v3
	v_cvt_u32_f32_e32 v6, v3
	v_mad_u64_u32 v[3:4], s[2:3], v5, s9, v[0:1]
	s_sub_i32 s2, 0, s40
	v_readfirstlane_b32 s3, v6
	s_mul_i32 s2, s2, s3
	s_mul_hi_u32 s2, s3, s2
	s_add_i32 s3, s3, s2
	s_mul_i32 s2, s26, s9
	s_mul_i32 s28, s2, s58
	s_mul_i32 s28, s28, s33
	s_mul_hi_u32 s27, s6, s3
	v_cmp_gt_u32_e32 vcc, s28, v3
	s_and_saveexec_b64 s[2:3], vcc
	s_cbranch_execz .LBB25_3
; %bb.1:
	s_mul_i32 s29, s58, s9
	s_mul_i32 s29, s29, s33
	v_lshl_add_u32 v4, v3, 2, 0
	s_lshl_b32 s30, s29, 2
	s_mov_b64 s[10:11], 0
	v_mov_b32_e32 v6, 0
.LBB25_2:                               ; =>This Inner Loop Header: Depth=1
	v_add_u32_e32 v3, s29, v3
	v_cmp_le_u32_e32 vcc, s28, v3
	ds_write_b32 v4, v6
	s_or_b64 s[10:11], vcc, s[10:11]
	v_add_u32_e32 v4, s30, v4
	s_andn2_b64 exec, exec, s[10:11]
	s_cbranch_execnz .LBB25_2
.LBB25_3:
	s_or_b64 exec, exec, s[2:3]
	s_load_dwordx4 s[28:31], s[4:5], 0x18
	s_load_dwordx2 s[10:11], s[4:5], 0x28
	s_mov_b32 s38, s1
	s_mov_b32 s36, 0
	s_mov_b64 s[34:35], -1
	s_waitcnt lgkmcnt(0)
	s_add_u32 s1, s30, s1
	s_addc_u32 s2, s31, 0
	s_add_u32 s1, s1, -1
	s_addc_u32 s37, s2, -1
	s_cmp_lg_u64 s[36:37], 0
	s_barrier
	s_cbranch_scc0 .LBB25_60
; %bb.4:
	s_add_u32 s2, s38, 0
	s_addc_u32 s3, 0, 0
	s_xor_b64 s[2:3], s[2:3], 0
	v_cvt_f32_u32_e32 v3, s2
	v_cvt_f32_u32_e32 v4, s3
	s_sub_u32 s36, 0, s2
	s_subb_u32 s39, 0, s3
	v_madmk_f32 v3, v4, 0x4f800000, v3
	v_rcp_f32_e32 v3, v3
	v_mul_f32_e32 v3, 0x5f7ffffc, v3
	v_mul_f32_e32 v4, 0x2f800000, v3
	v_trunc_f32_e32 v4, v4
	v_madmk_f32 v3, v4, 0xcf800000, v3
	v_cvt_u32_f32_e32 v4, v4
	v_cvt_u32_f32_e32 v3, v3
	v_readfirstlane_b32 s41, v4
	v_readfirstlane_b32 s42, v3
	s_mul_i32 s43, s36, s41
	s_mul_hi_u32 s45, s36, s42
	s_mul_i32 s44, s39, s42
	s_add_i32 s43, s45, s43
	s_add_i32 s43, s43, s44
	s_mul_i32 s46, s36, s42
	s_mul_i32 s45, s42, s43
	s_mul_hi_u32 s47, s42, s46
	s_mul_hi_u32 s44, s42, s43
	s_add_u32 s45, s47, s45
	s_addc_u32 s44, 0, s44
	s_mul_hi_u32 s48, s41, s46
	s_mul_i32 s46, s41, s46
	s_add_u32 s45, s45, s46
	s_mul_hi_u32 s47, s41, s43
	s_addc_u32 s44, s44, s48
	s_addc_u32 s45, s47, 0
	s_mul_i32 s43, s41, s43
	s_add_u32 s43, s44, s43
	s_addc_u32 s44, 0, s45
	s_add_u32 s45, s42, s43
	s_cselect_b64 s[42:43], -1, 0
	s_cmp_lg_u64 s[42:43], 0
	s_addc_u32 s41, s41, s44
	s_mul_i32 s42, s36, s41
	s_mul_hi_u32 s43, s36, s45
	s_add_i32 s42, s43, s42
	s_mul_i32 s39, s39, s45
	s_add_i32 s42, s42, s39
	s_mul_i32 s36, s36, s45
	s_mul_hi_u32 s43, s41, s36
	s_mul_i32 s44, s41, s36
	s_mul_i32 s47, s45, s42
	s_mul_hi_u32 s36, s45, s36
	s_mul_hi_u32 s46, s45, s42
	s_add_u32 s36, s36, s47
	s_addc_u32 s46, 0, s46
	s_add_u32 s36, s36, s44
	s_mul_hi_u32 s39, s41, s42
	s_addc_u32 s36, s46, s43
	s_addc_u32 s39, s39, 0
	s_mul_i32 s42, s41, s42
	s_add_u32 s36, s36, s42
	s_addc_u32 s39, 0, s39
	s_add_u32 s44, s45, s36
	s_cselect_b64 s[42:43], -1, 0
	s_cmp_lg_u64 s[42:43], 0
	s_addc_u32 s39, s41, s39
	s_ashr_i32 s42, s37, 31
	s_add_u32 s36, s1, s42
	s_mov_b32 s43, s42
	s_addc_u32 s37, s37, s42
	s_xor_b64 s[36:37], s[36:37], s[42:43]
	s_mul_i32 s45, s36, s39
	s_mul_hi_u32 s46, s36, s44
	s_mul_hi_u32 s41, s36, s39
	s_add_u32 s45, s46, s45
	s_addc_u32 s41, 0, s41
	s_mul_hi_u32 s47, s37, s44
	s_mul_i32 s44, s37, s44
	s_add_u32 s44, s45, s44
	s_mul_hi_u32 s46, s37, s39
	s_addc_u32 s41, s41, s47
	s_addc_u32 s44, s46, 0
	s_mul_i32 s39, s37, s39
	s_add_u32 s39, s41, s39
	s_addc_u32 s41, 0, s44
	s_mul_i32 s44, s2, s41
	s_mul_hi_u32 s45, s2, s39
	s_add_i32 s44, s45, s44
	s_mul_i32 s45, s3, s39
	s_add_i32 s48, s44, s45
	s_sub_i32 s46, s37, s48
	s_mul_i32 s44, s2, s39
	s_sub_u32 s36, s36, s44
	s_cselect_b64 s[44:45], -1, 0
	s_cmp_lg_u64 s[44:45], 0
	s_subb_u32 s49, s46, s3
	s_sub_u32 s50, s36, s2
	s_cselect_b64 s[46:47], -1, 0
	s_cmp_lg_u64 s[46:47], 0
	s_subb_u32 s46, s49, 0
	s_cmp_ge_u32 s46, s3
	s_cselect_b32 s47, -1, 0
	s_cmp_ge_u32 s50, s2
	s_cselect_b32 s49, -1, 0
	s_cmp_eq_u32 s46, s3
	s_cselect_b32 s46, s49, s47
	s_add_u32 s47, s39, 1
	s_addc_u32 s49, s41, 0
	s_add_u32 s50, s39, 2
	s_addc_u32 s51, s41, 0
	s_cmp_lg_u32 s46, 0
	s_cselect_b32 s46, s50, s47
	s_cselect_b32 s47, s51, s49
	s_cmp_lg_u64 s[44:45], 0
	s_subb_u32 s37, s37, s48
	s_cmp_ge_u32 s37, s3
	s_cselect_b32 s44, -1, 0
	s_cmp_ge_u32 s36, s2
	s_cselect_b32 s2, -1, 0
	s_cmp_eq_u32 s37, s3
	s_cselect_b32 s2, s2, s44
	s_cmp_lg_u32 s2, 0
	s_cselect_b32 s3, s47, s41
	s_cselect_b32 s2, s46, s39
	s_xor_b64 s[36:37], s[42:43], 0
	s_xor_b64 s[2:3], s[2:3], s[36:37]
	s_sub_u32 s2, s2, s36
	s_subb_u32 s3, s3, s37
	s_cbranch_execnz .LBB25_6
.LBB25_5:
	v_cvt_f32_u32_e32 v3, s38
	s_sub_i32 s2, 0, s38
	s_mov_b32 s3, 0
	v_rcp_iflag_f32_e32 v3, v3
	v_mul_f32_e32 v3, 0x4f7ffffe, v3
	v_cvt_u32_f32_e32 v3, v3
	v_readfirstlane_b32 s34, v3
	s_mul_i32 s2, s2, s34
	s_mul_hi_u32 s2, s34, s2
	s_add_i32 s34, s34, s2
	s_mul_hi_u32 s2, s1, s34
	s_mul_i32 s35, s2, s38
	s_sub_i32 s1, s1, s35
	s_add_i32 s34, s2, 1
	s_sub_i32 s35, s1, s38
	s_cmp_ge_u32 s1, s38
	s_cselect_b32 s2, s34, s2
	s_cselect_b32 s1, s35, s1
	s_add_i32 s34, s2, 1
	s_cmp_ge_u32 s1, s38
	s_cselect_b32 s2, s34, s2
.LBB25_6:
	s_add_u32 s1, s10, s0
	s_addc_u32 s34, s11, 0
	s_add_u32 s1, s1, -1
	s_mov_b32 s38, 0
	s_addc_u32 s39, s34, -1
	s_cmp_lg_u64 s[38:39], 0
	s_mov_b64 s[34:35], -1
	s_cbranch_scc0 .LBB25_61
; %bb.7:
	s_add_u32 s34, s0, 0
	s_addc_u32 s35, 0, 0
	s_xor_b64 s[36:37], s[34:35], 0
	v_cvt_f32_u32_e32 v3, s36
	v_cvt_f32_u32_e32 v4, s37
	s_sub_u32 s38, 0, s36
	s_subb_u32 s41, 0, s37
	v_madmk_f32 v3, v4, 0x4f800000, v3
	v_rcp_f32_e32 v3, v3
	v_mul_f32_e32 v3, 0x5f7ffffc, v3
	v_mul_f32_e32 v4, 0x2f800000, v3
	v_trunc_f32_e32 v4, v4
	v_madmk_f32 v3, v4, 0xcf800000, v3
	v_cvt_u32_f32_e32 v4, v4
	v_cvt_u32_f32_e32 v3, v3
	v_readfirstlane_b32 s44, v4
	v_readfirstlane_b32 s42, v3
	s_mul_i32 s43, s38, s44
	s_mul_hi_u32 s46, s38, s42
	s_mul_i32 s45, s41, s42
	s_add_i32 s43, s46, s43
	s_add_i32 s43, s43, s45
	s_mul_i32 s47, s38, s42
	s_mul_i32 s46, s42, s43
	s_mul_hi_u32 s48, s42, s47
	s_mul_hi_u32 s45, s42, s43
	s_add_u32 s46, s48, s46
	s_addc_u32 s45, 0, s45
	s_mul_hi_u32 s49, s44, s47
	s_mul_i32 s47, s44, s47
	s_add_u32 s46, s46, s47
	s_mul_hi_u32 s48, s44, s43
	s_addc_u32 s45, s45, s49
	s_addc_u32 s46, s48, 0
	s_mul_i32 s43, s44, s43
	s_add_u32 s43, s45, s43
	s_addc_u32 s45, 0, s46
	s_add_u32 s46, s42, s43
	s_cselect_b64 s[42:43], -1, 0
	s_cmp_lg_u64 s[42:43], 0
	s_addc_u32 s44, s44, s45
	s_mul_i32 s42, s38, s44
	s_mul_hi_u32 s43, s38, s46
	s_add_i32 s42, s43, s42
	s_mul_i32 s41, s41, s46
	s_add_i32 s42, s42, s41
	s_mul_i32 s38, s38, s46
	s_mul_hi_u32 s43, s44, s38
	s_mul_i32 s45, s44, s38
	s_mul_i32 s48, s46, s42
	s_mul_hi_u32 s38, s46, s38
	s_mul_hi_u32 s47, s46, s42
	s_add_u32 s38, s38, s48
	s_addc_u32 s47, 0, s47
	s_add_u32 s38, s38, s45
	s_mul_hi_u32 s41, s44, s42
	s_addc_u32 s38, s47, s43
	s_addc_u32 s41, s41, 0
	s_mul_i32 s42, s44, s42
	s_add_u32 s38, s38, s42
	s_addc_u32 s41, 0, s41
	s_add_u32 s45, s46, s38
	s_cselect_b64 s[42:43], -1, 0
	s_cmp_lg_u64 s[42:43], 0
	s_addc_u32 s41, s44, s41
	s_ashr_i32 s42, s39, 31
	s_add_u32 s38, s1, s42
	s_mov_b32 s43, s42
	s_addc_u32 s39, s39, s42
	s_xor_b64 s[38:39], s[38:39], s[42:43]
	s_mul_i32 s46, s38, s41
	s_mul_hi_u32 s47, s38, s45
	s_mul_hi_u32 s44, s38, s41
	s_add_u32 s46, s47, s46
	s_addc_u32 s44, 0, s44
	s_mul_hi_u32 s48, s39, s45
	s_mul_i32 s45, s39, s45
	s_add_u32 s45, s46, s45
	s_mul_hi_u32 s47, s39, s41
	s_addc_u32 s44, s44, s48
	s_addc_u32 s45, s47, 0
	s_mul_i32 s41, s39, s41
	s_add_u32 s41, s44, s41
	s_addc_u32 s48, 0, s45
	s_mul_i32 s44, s36, s48
	s_mul_hi_u32 s45, s36, s41
	s_add_i32 s44, s45, s44
	s_mul_i32 s45, s37, s41
	s_add_i32 s49, s44, s45
	s_sub_i32 s46, s39, s49
	s_mul_i32 s44, s36, s41
	s_sub_u32 s38, s38, s44
	s_cselect_b64 s[44:45], -1, 0
	s_cmp_lg_u64 s[44:45], 0
	s_subb_u32 s50, s46, s37
	s_sub_u32 s51, s38, s36
	s_cselect_b64 s[46:47], -1, 0
	s_cmp_lg_u64 s[46:47], 0
	s_subb_u32 s46, s50, 0
	s_cmp_ge_u32 s46, s37
	s_cselect_b32 s47, -1, 0
	s_cmp_ge_u32 s51, s36
	s_cselect_b32 s50, -1, 0
	s_cmp_eq_u32 s46, s37
	s_cselect_b32 s46, s50, s47
	s_add_u32 s47, s41, 1
	s_addc_u32 s50, s48, 0
	s_add_u32 s51, s41, 2
	s_addc_u32 s52, s48, 0
	s_cmp_lg_u32 s46, 0
	s_cselect_b32 s46, s51, s47
	s_cselect_b32 s47, s52, s50
	s_cmp_lg_u64 s[44:45], 0
	s_subb_u32 s39, s39, s49
	s_cmp_ge_u32 s39, s37
	s_cselect_b32 s44, -1, 0
	s_cmp_ge_u32 s38, s36
	s_cselect_b32 s36, -1, 0
	s_cmp_eq_u32 s39, s37
	s_cselect_b32 s36, s36, s44
	s_cmp_lg_u32 s36, 0
	s_cselect_b32 s37, s47, s48
	s_cselect_b32 s36, s46, s41
	s_xor_b64 s[38:39], s[42:43], 0
	s_xor_b64 s[36:37], s[36:37], s[38:39]
	s_sub_u32 s36, s36, s38
	s_subb_u32 s37, s37, s39
	s_cbranch_execnz .LBB25_9
.LBB25_8:
	v_cvt_f32_u32_e32 v3, s0
	s_sub_i32 s34, 0, s0
	s_mov_b32 s37, 0
	v_rcp_iflag_f32_e32 v3, v3
	v_mul_f32_e32 v3, 0x4f7ffffe, v3
	v_cvt_u32_f32_e32 v3, v3
	v_readfirstlane_b32 s35, v3
	s_mul_i32 s34, s34, s35
	s_mul_hi_u32 s34, s35, s34
	s_add_i32 s35, s35, s34
	s_mul_hi_u32 s34, s1, s35
	s_mul_i32 s36, s34, s0
	s_sub_i32 s1, s1, s36
	s_add_i32 s35, s34, 1
	s_sub_i32 s36, s1, s0
	s_cmp_ge_u32 s1, s0
	s_cselect_b32 s34, s35, s34
	s_cselect_b32 s1, s36, s1
	s_add_i32 s35, s34, 1
	s_cmp_ge_u32 s1, s0
	s_cselect_b32 s36, s35, s34
.LBB25_9:
	s_mul_i32 s8, s8, s2
	v_add_u32_e32 v17, s8, v2
	s_bfe_i64 s[0:1], s[2:3], 0x200000
	v_ashrrev_i32_e32 v3, 31, v17
	v_mov_b32_e32 v4, s1
	v_add_co_u32_e32 v2, vcc, s0, v17
	v_addc_co_u32_e32 v3, vcc, v4, v3, vcc
	v_cmp_gt_i64_e32 vcc, s[30:31], v[2:3]
	v_mov_b32_e32 v4, s30
	v_cndmask_b32_e32 v18, v4, v2, vcc
	v_cmp_lt_i32_e32 vcc, v17, v18
	s_and_saveexec_b64 s[0:1], vcc
	s_cbranch_execz .LBB25_59
; %bb.10:
	s_mul_i32 s7, s7, s36
	v_add_u32_e32 v19, s7, v1
	s_bfe_i64 s[0:1], s[36:37], 0x200000
	v_mov_b32_e32 v3, s1
	v_add_co_u32_e32 v1, vcc, s0, v19
	s_load_dwordx4 s[0:3], s[4:5], 0x0
	s_load_dwordx2 s[34:35], s[4:5], 0x70
	s_mul_i32 s4, s27, s40
	s_sub_i32 s4, s6, s4
	s_add_i32 s5, s27, 1
	s_sub_i32 s7, s4, s40
	s_cmp_ge_u32 s4, s40
	s_cselect_b32 s5, s5, s27
	s_cselect_b32 s4, s7, s4
	s_add_i32 s7, s5, 1
	s_cmp_ge_u32 s4, s40
	s_cselect_b32 s8, s7, s5
	s_mul_i32 s5, s30, s29
	s_mul_hi_u32 s7, s30, s28
	v_ashrrev_i32_e32 v2, 31, v19
	s_add_i32 s5, s7, s5
	s_mul_i32 s7, s31, s28
	v_addc_co_u32_e32 v2, vcc, v3, v2, vcc
	s_mul_i32 s4, s8, s40
	s_add_i32 s5, s5, s7
	s_mul_i32 s7, s30, s28
	v_cmp_gt_i64_e32 vcc, s[10:11], v[1:2]
	s_sub_i32 s6, s6, s4
	s_mul_i32 s11, s7, s11
	s_mul_hi_u32 s27, s7, s10
	s_ashr_i32 s4, s6, 31
	s_add_i32 s11, s27, s11
	s_mul_i32 s5, s5, s10
	s_mul_i32 s7, s7, s10
	s_add_i32 s5, s11, s5
	s_mul_i32 s4, s7, s4
	s_mul_hi_u32 s11, s7, s6
	s_mul_i32 s5, s5, s6
	s_add_i32 s4, s11, s4
	s_add_i32 s5, s4, s5
	s_mul_i32 s4, s7, s6
	s_lshl_b64 s[4:5], s[4:5], 1
	s_waitcnt lgkmcnt(0)
	s_add_u32 s11, s34, s4
	s_mul_i32 s4, s13, s12
	s_mul_i32 s4, s4, s6
	s_addc_u32 s59, s35, s5
	s_ashr_i32 s5, s4, 31
	s_mul_i32 s5, s28, s5
	s_mul_hi_u32 s6, s28, s4
	s_add_i32 s5, s6, s5
	s_mul_i32 s6, s29, s4
	s_add_i32 s5, s5, s6
	s_mul_i32 s4, s28, s4
	s_lshl_b64 s[6:7], s[4:5], 3
	s_add_u32 s60, s2, s6
	s_addc_u32 s61, s3, s7
	s_lshl_b64 s[2:3], s[4:5], 1
	s_add_u32 s62, s0, s2
	s_addc_u32 s63, s1, s3
	s_abs_i32 s65, s16
	v_cvt_f32_u32_e32 v2, s65
	v_mov_b32_e32 v3, s10
	s_abs_i32 s67, s17
	v_cndmask_b32_e32 v20, v3, v1, vcc
	v_rcp_iflag_f32_e32 v2, v2
	v_cvt_f32_u32_e32 v3, s67
	s_add_i32 s2, s15, -1
	s_mul_i32 s68, s21, s2
	v_mul_f32_e32 v2, 0x4f7ffffe, v2
	v_rcp_iflag_f32_e32 v3, v3
	v_cvt_u32_f32_e32 v4, v2
	s_sub_i32 s2, 0, s65
	s_sub_i32 s4, 0, s67
	v_mul_f32_e32 v3, 0x4f7ffffe, v3
	v_cvt_u32_f32_e32 v3, v3
	v_mul_lo_u32 v6, s2, v4
	s_mul_i32 s0, s8, s9
	v_add_u32_e32 v1, s0, v0
	v_mul_lo_u32 v7, s4, v3
	v_mul_hi_u32 v6, v4, v6
	v_mul_lo_u32 v23, s22, v1
	s_add_i32 s4, s8, s25
	v_mul_hi_u32 v7, v3, v7
	v_add_u32_e32 v21, v4, v6
	v_mul_lo_u32 v4, s26, v5
	s_add_i32 s0, s14, -1
	v_add_u32_e32 v22, v3, v7
	v_ashrrev_i32_e32 v2, 31, v1
	v_mul_lo_u32 v3, v4, s9
	s_mul_i32 s4, s4, s9
	s_mul_i32 s64, s20, s0
	v_cmp_gt_i64_e64 s[2:3], s[28:29], v[1:2]
	s_mul_i32 s70, s25, s9
	v_add_u32_e32 v24, s4, v0
	v_lshlrev_b32_e32 v3, 2, v3
	v_lshlrev_b32_e32 v0, 2, v0
	s_not_b32 s66, s64
	v_cmp_lt_i32_e64 s[0:1], v19, v20
	s_not_b32 s69, s68
	s_ashr_i32 s71, s16, 31
	s_ashr_i32 s72, s17, 31
	s_mul_i32 s22, s70, s22
	v_add3_u32 v0, v3, v0, 0
	s_lshl_b32 s25, s9, 2
	s_mov_b64 s[14:15], 0
	s_movk_i32 s73, 0x7fff
	v_mov_b32_e32 v25, 0x7fc0
                                        ; implicit-def: $vgpr26
                                        ; implicit-def: $vgpr27
                                        ; implicit-def: $vgpr28
                                        ; implicit-def: $vgpr29
	s_branch .LBB25_13
.LBB25_11:                              ;   in Loop: Header=BB25_13 Depth=1
	s_or_b64 exec, exec, s[20:21]
.LBB25_12:                              ;   in Loop: Header=BB25_13 Depth=1
	s_or_b64 exec, exec, s[16:17]
	v_add_u32_e32 v17, s33, v17
	v_cmp_ge_i32_e32 vcc, v17, v18
	s_or_b64 s[14:15], vcc, s[14:15]
	s_andn2_b64 exec, exec, s[14:15]
	s_cbranch_execz .LBB25_59
.LBB25_13:                              ; =>This Loop Header: Depth=1
                                        ;     Child Loop BB25_19 Depth 2
                                        ;       Child Loop BB25_28 Depth 3
                                        ;         Child Loop BB25_31 Depth 4
                                        ;           Child Loop BB25_34 Depth 5
                                        ;       Child Loop BB25_40 Depth 3
                                        ;       Child Loop BB25_51 Depth 3
                                        ;       Child Loop BB25_57 Depth 3
	v_add_u32_e32 v3, s18, v17
	v_cmp_lt_i32_e32 vcc, s64, v3
	v_mov_b32_e32 v30, 0
	s_and_saveexec_b64 s[4:5], vcc
	s_cbranch_execz .LBB25_15
; %bb.14:                               ;   in Loop: Header=BB25_13 Depth=1
	v_add_u32_e32 v4, s66, v3
	v_sub_u32_e32 v5, 0, v4
	v_max_i32_e32 v5, v4, v5
	v_mul_hi_u32 v6, v5, v21
	v_ashrrev_i32_e32 v4, 31, v4
	v_xor_b32_e32 v4, s71, v4
	v_mul_lo_u32 v7, v6, s65
	v_add_u32_e32 v8, 1, v6
	v_sub_u32_e32 v5, v5, v7
	v_cmp_le_u32_e32 vcc, s65, v5
	v_subrev_u32_e32 v7, s65, v5
	v_cndmask_b32_e32 v6, v6, v8, vcc
	v_cndmask_b32_e32 v5, v5, v7, vcc
	v_add_u32_e32 v7, 1, v6
	v_cmp_le_u32_e32 vcc, s65, v5
	v_cndmask_b32_e32 v5, v6, v7, vcc
	v_xor_b32_e32 v5, v5, v4
	v_sub_u32_e32 v4, v5, v4
	v_add_u32_e32 v30, 1, v4
.LBB25_15:                              ;   in Loop: Header=BB25_13 Depth=1
	s_or_b64 exec, exec, s[4:5]
	s_and_saveexec_b64 s[16:17], s[0:1]
	s_cbranch_execz .LBB25_12
; %bb.16:                               ;   in Loop: Header=BB25_13 Depth=1
	v_sub_u32_e32 v4, 0, v3
	v_max_i32_e32 v4, v3, v4
	v_mul_hi_u32 v5, v4, v21
	v_ashrrev_i32_e32 v3, 31, v3
	v_xor_b32_e32 v3, s71, v3
	v_add_u32_e32 v8, 1, v30
	v_mul_lo_u32 v6, v5, s65
	v_add_u32_e32 v7, 1, v5
	v_mul_lo_u32 v32, v17, s10
	v_mul_lo_u32 v35, s23, v8
	v_sub_u32_e32 v4, v4, v6
	v_cmp_le_u32_e32 vcc, s65, v4
	v_subrev_u32_e32 v6, s65, v4
	v_cndmask_b32_e32 v5, v5, v7, vcc
	v_cndmask_b32_e32 v4, v4, v6, vcc
	v_add_u32_e32 v6, 1, v5
	v_cmp_le_u32_e32 vcc, s65, v4
	v_cndmask_b32_e32 v4, v5, v6, vcc
	v_xor_b32_e32 v4, v4, v3
	v_sub_u32_e32 v3, v4, v3
	v_add_u32_e32 v3, 1, v3
	v_min_i32_e32 v31, s12, v3
	v_mul_lo_u32 v3, v30, s23
	v_sub_u32_e32 v4, v31, v30
	v_cmp_gt_i32_e64 s[8:9], 3, v4
	v_mov_b32_e32 v6, s61
	v_ashrrev_i32_e32 v4, 31, v3
	v_lshlrev_b64 v[4:5], 3, v[3:4]
	v_cmp_eq_u32_e32 vcc, v8, v31
	v_add_co_u32_e64 v33, s[6:7], s60, v4
	v_addc_co_u32_e64 v34, s[6:7], v6, v5, s[6:7]
	v_add_u32_e32 v6, s23, v3
	v_ashrrev_i32_e32 v7, 31, v6
	v_lshlrev_b64 v[6:7], 3, v[6:7]
	v_cmp_gt_i32_e64 s[4:5], v31, v30
	v_cmp_lt_i32_e64 s[6:7], v8, v31
	s_mov_b64 s[20:21], 0
	s_xor_b64 s[26:27], vcc, -1
	s_xor_b64 s[30:31], s[8:9], -1
	v_mov_b32_e32 v36, v19
	s_branch .LBB25_19
.LBB25_17:                              ;   in Loop: Header=BB25_19 Depth=2
	s_or_b64 exec, exec, s[34:35]
.LBB25_18:                              ;   in Loop: Header=BB25_19 Depth=2
	s_or_b64 exec, exec, s[8:9]
	v_add_u32_e32 v36, s58, v36
	v_cmp_ge_i32_e32 vcc, v36, v20
	s_or_b64 s[20:21], vcc, s[20:21]
	s_andn2_b64 exec, exec, s[20:21]
	s_cbranch_execz .LBB25_11
.LBB25_19:                              ;   Parent Loop BB25_13 Depth=1
                                        ; =>  This Loop Header: Depth=2
                                        ;       Child Loop BB25_28 Depth 3
                                        ;         Child Loop BB25_31 Depth 4
                                        ;           Child Loop BB25_34 Depth 5
                                        ;       Child Loop BB25_40 Depth 3
                                        ;       Child Loop BB25_51 Depth 3
	;; [unrolled: 1-line block ×3, first 2 shown]
	v_add_u32_e32 v8, s19, v36
	v_cmp_lt_i32_e32 vcc, s68, v8
	v_mov_b32_e32 v15, 0
	s_and_saveexec_b64 s[8:9], vcc
	s_cbranch_execz .LBB25_21
; %bb.20:                               ;   in Loop: Header=BB25_19 Depth=2
	v_add_u32_e32 v9, s69, v8
	v_sub_u32_e32 v10, 0, v9
	v_max_i32_e32 v10, v9, v10
	v_mul_hi_u32 v11, v10, v22
	v_ashrrev_i32_e32 v9, 31, v9
	v_xor_b32_e32 v9, s72, v9
	v_mul_lo_u32 v12, v11, s67
	v_add_u32_e32 v13, 1, v11
	v_sub_u32_e32 v10, v10, v12
	v_cmp_le_u32_e32 vcc, s67, v10
	v_subrev_u32_e32 v12, s67, v10
	v_cndmask_b32_e32 v11, v11, v13, vcc
	v_cndmask_b32_e32 v10, v10, v12, vcc
	v_add_u32_e32 v12, 1, v11
	v_cmp_le_u32_e32 vcc, s67, v10
	v_cndmask_b32_e32 v10, v11, v12, vcc
	v_xor_b32_e32 v10, v10, v9
	v_sub_u32_e32 v9, v10, v9
	v_add_u32_e32 v15, 1, v9
.LBB25_21:                              ;   in Loop: Header=BB25_19 Depth=2
	s_or_b64 exec, exec, s[8:9]
	v_sub_u32_e32 v9, 0, v8
	v_max_i32_e32 v9, v8, v9
	v_mul_hi_u32 v10, v9, v22
	v_ashrrev_i32_e32 v8, 31, v8
	v_xor_b32_e32 v8, s72, v8
	v_mul_lo_u32 v11, v10, s67
	v_add_u32_e32 v12, 1, v10
	v_sub_u32_e32 v9, v9, v11
	v_cmp_le_u32_e32 vcc, s67, v9
	v_subrev_u32_e32 v11, s67, v9
	v_cndmask_b32_e32 v10, v10, v12, vcc
	v_cndmask_b32_e32 v9, v9, v11, vcc
	v_add_u32_e32 v11, 1, v10
	v_cmp_le_u32_e32 vcc, s67, v9
	v_cndmask_b32_e32 v9, v10, v11, vcc
	v_xor_b32_e32 v9, v9, v8
	v_sub_u32_e32 v8, v9, v8
	v_add_u32_e32 v8, 1, v8
	v_min_i32_e32 v16, s13, v8
	v_add_u32_e32 v9, 1, v15
	v_cmp_ne_u32_e32 vcc, v9, v16
	v_add_u32_e32 v8, v36, v32
	s_or_b64 s[8:9], s[26:27], vcc
	s_and_saveexec_b64 s[34:35], s[8:9]
	s_xor_b64 s[34:35], exec, s[34:35]
	s_cbranch_execz .LBB25_53
; %bb.22:                               ;   in Loop: Header=BB25_19 Depth=2
	v_sub_u32_e32 v10, v16, v15
	v_cmp_lt_i32_e32 vcc, 2, v10
	s_or_b64 s[8:9], s[30:31], vcc
	s_and_saveexec_b64 s[36:37], s[8:9]
	s_xor_b64 s[36:37], exec, s[36:37]
	s_cbranch_execnz .LBB25_25
; %bb.23:                               ;   in Loop: Header=BB25_19 Depth=2
	s_andn2_saveexec_b64 s[36:37], s[36:37]
	s_cbranch_execnz .LBB25_37
.LBB25_24:                              ;   in Loop: Header=BB25_19 Depth=2
	s_or_b64 exec, exec, s[36:37]
	s_and_saveexec_b64 s[36:37], s[2:3]
	s_cbranch_execnz .LBB25_50
	s_branch .LBB25_52
.LBB25_25:                              ;   in Loop: Header=BB25_19 Depth=2
	s_and_saveexec_b64 s[38:39], s[4:5]
	s_cbranch_execz .LBB25_36
; %bb.26:                               ;   in Loop: Header=BB25_19 Depth=2
	v_mad_u64_u32 v[10:11], s[8:9], s24, v15, v[3:4]
	v_cmp_gt_i32_e32 vcc, v16, v15
	v_ashrrev_i32_e32 v9, 31, v8
	s_mov_b64 s[40:41], 0
	v_mov_b32_e32 v37, v30
	s_branch .LBB25_28
.LBB25_27:                              ;   in Loop: Header=BB25_28 Depth=3
	s_or_b64 exec, exec, s[42:43]
	v_add_u32_e32 v37, 1, v37
	v_cmp_ge_i32_e64 s[8:9], v37, v31
	s_or_b64 s[40:41], s[8:9], s[40:41]
	v_add_u32_e32 v10, s23, v10
	s_andn2_b64 exec, exec, s[40:41]
	s_cbranch_execz .LBB25_36
.LBB25_28:                              ;   Parent Loop BB25_13 Depth=1
                                        ;     Parent Loop BB25_19 Depth=2
                                        ; =>    This Loop Header: Depth=3
                                        ;         Child Loop BB25_31 Depth 4
                                        ;           Child Loop BB25_34 Depth 5
	s_and_saveexec_b64 s[42:43], vcc
	s_cbranch_execz .LBB25_27
; %bb.29:                               ;   in Loop: Header=BB25_28 Depth=3
	v_mul_lo_u32 v11, v37, s23
	v_mov_b32_e32 v13, s61
	s_mov_b64 s[44:45], 0
	v_mov_b32_e32 v40, v10
	v_ashrrev_i32_e32 v12, 31, v11
	v_lshlrev_b64 v[11:12], 3, v[11:12]
	v_mov_b32_e32 v41, v15
	v_add_co_u32_e64 v38, s[8:9], s60, v11
	v_addc_co_u32_e64 v39, s[8:9], v13, v12, s[8:9]
	s_branch .LBB25_31
.LBB25_30:                              ;   in Loop: Header=BB25_31 Depth=4
	s_or_b64 exec, exec, s[46:47]
	v_add_u32_e32 v41, 1, v41
	v_cmp_ge_i32_e64 s[8:9], v41, v16
	s_or_b64 s[44:45], s[8:9], s[44:45]
	v_add_u32_e32 v40, s24, v40
	s_andn2_b64 exec, exec, s[44:45]
	s_cbranch_execz .LBB25_27
.LBB25_31:                              ;   Parent Loop BB25_13 Depth=1
                                        ;     Parent Loop BB25_19 Depth=2
                                        ;       Parent Loop BB25_28 Depth=3
                                        ; =>      This Loop Header: Depth=4
                                        ;           Child Loop BB25_34 Depth 5
	s_and_saveexec_b64 s[46:47], s[2:3]
	s_cbranch_execz .LBB25_30
; %bb.32:                               ;   in Loop: Header=BB25_31 Depth=4
	v_mul_lo_u32 v11, v41, s24
	s_mov_b64 s[48:49], 0
	v_mov_b32_e32 v44, v0
	v_mov_b32_e32 v13, v23
	v_ashrrev_i32_e32 v12, 31, v11
	v_lshlrev_b64 v[11:12], 3, v[11:12]
	v_add_co_u32_e64 v42, s[8:9], v38, v11
	v_addc_co_u32_e64 v43, s[8:9], v39, v12, s[8:9]
	v_mov_b32_e32 v11, v24
	s_branch .LBB25_34
.LBB25_33:                              ;   in Loop: Header=BB25_34 Depth=5
	s_or_b64 exec, exec, s[50:51]
	v_ashrrev_i32_e32 v12, 31, v11
	v_cmp_le_i64_e64 s[8:9], s[28:29], v[11:12]
	v_add_u32_e32 v13, s22, v13
	v_add_u32_e32 v11, s70, v11
	s_or_b64 s[48:49], s[8:9], s[48:49]
	v_add_u32_e32 v44, s25, v44
	s_andn2_b64 exec, exec, s[48:49]
	s_cbranch_execz .LBB25_30
.LBB25_34:                              ;   Parent Loop BB25_13 Depth=1
                                        ;     Parent Loop BB25_19 Depth=2
                                        ;       Parent Loop BB25_28 Depth=3
                                        ;         Parent Loop BB25_31 Depth=4
                                        ; =>        This Inner Loop Header: Depth=5
	v_ashrrev_i32_e32 v14, 31, v13
	v_lshlrev_b64 v[45:46], 3, v[13:14]
	v_add_co_u32_e64 v45, s[8:9], v42, v45
	v_addc_co_u32_e64 v46, s[8:9], v43, v46, s[8:9]
	global_load_dwordx2 v[45:46], v[45:46], off
	s_waitcnt vmcnt(0)
	v_cmp_eq_u64_e64 s[8:9], v[45:46], v[8:9]
	s_and_saveexec_b64 s[50:51], s[8:9]
	s_cbranch_execz .LBB25_33
; %bb.35:                               ;   in Loop: Header=BB25_34 Depth=5
	v_add_u32_e32 v45, v40, v13
	v_ashrrev_i32_e32 v46, 31, v45
	v_lshlrev_b64 v[45:46], 1, v[45:46]
	v_mov_b32_e32 v12, s63
	v_add_co_u32_e64 v45, s[8:9], s62, v45
	v_addc_co_u32_e64 v46, s[8:9], v12, v46, s[8:9]
	global_load_ushort v12, v[45:46], off
	ds_read_b32 v14, v44
	s_waitcnt vmcnt(0)
	v_lshlrev_b32_e32 v12, 16, v12
	s_waitcnt lgkmcnt(0)
	v_add_f32_e32 v12, v14, v12
	ds_write_b32 v44, v12
	s_branch .LBB25_33
.LBB25_36:                              ;   in Loop: Header=BB25_19 Depth=2
	s_or_b64 exec, exec, s[38:39]
                                        ; implicit-def: $vgpr16
                                        ; implicit-def: $vgpr15
                                        ; implicit-def: $vgpr9
	s_andn2_saveexec_b64 s[36:37], s[36:37]
	s_cbranch_execz .LBB25_24
.LBB25_37:                              ;   in Loop: Header=BB25_19 Depth=2
	s_and_saveexec_b64 s[38:39], s[2:3]
	s_cbranch_execz .LBB25_49
; %bb.38:                               ;   in Loop: Header=BB25_19 Depth=2
	v_mul_lo_u32 v10, v15, s24
	v_cmp_gt_i32_e32 vcc, v16, v15
	v_cmp_lt_i32_e64 s[8:9], v9, v16
	s_and_b64 s[40:41], s[4:5], vcc
	v_add_u32_e32 v12, s24, v10
	v_ashrrev_i32_e32 v11, 31, v10
	v_ashrrev_i32_e32 v13, 31, v12
	v_add_u32_e32 v37, v35, v12
	v_add_u32_e32 v38, v35, v10
	;; [unrolled: 1-line block ×4, first 2 shown]
	v_lshlrev_b64 v[9:10], 3, v[10:11]
	v_lshlrev_b64 v[11:12], 3, v[12:13]
	s_and_b64 s[42:43], s[4:5], s[8:9]
	s_and_b64 s[44:45], s[6:7], vcc
	s_and_b64 s[8:9], s[6:7], s[8:9]
	s_mov_b64 s[46:47], 0
	v_mov_b32_e32 v41, v0
	v_mov_b32_e32 v13, v24
	;; [unrolled: 1-line block ×3, first 2 shown]
	s_branch .LBB25_40
.LBB25_39:                              ;   in Loop: Header=BB25_40 Depth=3
	s_or_b64 exec, exec, s[56:57]
	s_waitcnt vmcnt(0)
	v_lshlrev_b32_e32 v14, 16, v29
	v_add_f32_e32 v14, 0, v14
	v_cndmask_b32_e64 v14, 0, v14, s[48:49]
	v_lshlrev_b32_e32 v16, 16, v28
	v_add_f32_e32 v16, v14, v16
	v_cndmask_b32_e64 v14, v14, v16, s[52:53]
	v_lshlrev_b32_e32 v16, 16, v27
	ds_read_b32 v42, v41
	v_add_f32_e32 v16, v14, v16
	v_cndmask_b32_e64 v14, v14, v16, s[50:51]
	v_lshlrev_b32_e32 v16, 16, v26
	v_add_f32_e32 v16, v14, v16
	v_cndmask_b32_e64 v14, v14, v16, s[54:55]
	s_waitcnt lgkmcnt(0)
	v_add_f32_e32 v14, v14, v42
	ds_write_b32 v41, v14
	v_ashrrev_i32_e32 v14, 31, v13
	v_cmp_le_i64_e32 vcc, s[28:29], v[13:14]
	v_add_u32_e32 v15, s22, v15
	v_add_u32_e32 v13, s70, v13
	s_or_b64 s[46:47], vcc, s[46:47]
	v_add_u32_e32 v41, s25, v41
	s_andn2_b64 exec, exec, s[46:47]
	s_cbranch_execz .LBB25_48
.LBB25_40:                              ;   Parent Loop BB25_13 Depth=1
                                        ;     Parent Loop BB25_19 Depth=2
                                        ; =>    This Inner Loop Header: Depth=3
	v_ashrrev_i32_e32 v16, 31, v15
	v_lshlrev_b64 v[42:43], 3, v[15:16]
	v_mov_b32_e32 v16, s61
	v_add_co_u32_e32 v14, vcc, s60, v42
	v_addc_co_u32_e32 v16, vcc, v16, v43, vcc
	v_add_co_u32_e32 v42, vcc, v14, v4
	v_addc_co_u32_e32 v43, vcc, v16, v5, vcc
	s_mov_b64 s[48:49], 0
	s_and_saveexec_b64 s[50:51], s[40:41]
	s_cbranch_execz .LBB25_42
; %bb.41:                               ;   in Loop: Header=BB25_40 Depth=3
	v_add_co_u32_e32 v44, vcc, v42, v9
	v_addc_co_u32_e32 v45, vcc, v43, v10, vcc
	global_load_dword v46, v[44:45], off
	v_add_u32_e32 v44, v40, v15
	v_ashrrev_i32_e32 v45, 31, v44
	v_lshlrev_b64 v[44:45], 1, v[44:45]
	v_mov_b32_e32 v29, s63
	v_add_co_u32_e32 v44, vcc, s62, v44
	v_addc_co_u32_e32 v45, vcc, v29, v45, vcc
	global_load_ushort v29, v[44:45], off
	s_waitcnt vmcnt(1)
	v_cmp_eq_u32_e32 vcc, v8, v46
	s_and_b64 s[48:49], vcc, exec
.LBB25_42:                              ;   in Loop: Header=BB25_40 Depth=3
	s_or_b64 exec, exec, s[50:51]
	s_mov_b64 s[50:51], 0
	s_mov_b64 s[52:53], 0
	s_and_saveexec_b64 s[54:55], s[42:43]
	s_cbranch_execz .LBB25_44
; %bb.43:                               ;   in Loop: Header=BB25_40 Depth=3
	v_add_co_u32_e32 v42, vcc, v42, v11
	v_addc_co_u32_e32 v43, vcc, v43, v12, vcc
	global_load_dword v44, v[42:43], off
	v_add_u32_e32 v42, v39, v15
	v_ashrrev_i32_e32 v43, 31, v42
	v_lshlrev_b64 v[42:43], 1, v[42:43]
	v_mov_b32_e32 v28, s63
	v_add_co_u32_e32 v42, vcc, s62, v42
	v_addc_co_u32_e32 v43, vcc, v28, v43, vcc
	global_load_ushort v28, v[42:43], off
	s_waitcnt vmcnt(1)
	v_cmp_eq_u32_e32 vcc, v8, v44
	s_and_b64 s[52:53], vcc, exec
.LBB25_44:                              ;   in Loop: Header=BB25_40 Depth=3
	s_or_b64 exec, exec, s[54:55]
	v_add_co_u32_e32 v14, vcc, v14, v6
	v_addc_co_u32_e32 v16, vcc, v16, v7, vcc
	s_and_saveexec_b64 s[54:55], s[44:45]
	s_cbranch_execz .LBB25_46
; %bb.45:                               ;   in Loop: Header=BB25_40 Depth=3
	v_add_co_u32_e32 v42, vcc, v14, v9
	v_addc_co_u32_e32 v43, vcc, v16, v10, vcc
	global_load_dword v44, v[42:43], off
	v_add_u32_e32 v42, v38, v15
	v_ashrrev_i32_e32 v43, 31, v42
	v_lshlrev_b64 v[42:43], 1, v[42:43]
	v_mov_b32_e32 v27, s63
	v_add_co_u32_e32 v42, vcc, s62, v42
	v_addc_co_u32_e32 v43, vcc, v27, v43, vcc
	global_load_ushort v27, v[42:43], off
	s_waitcnt vmcnt(1)
	v_cmp_eq_u32_e32 vcc, v8, v44
	s_and_b64 s[50:51], vcc, exec
.LBB25_46:                              ;   in Loop: Header=BB25_40 Depth=3
	s_or_b64 exec, exec, s[54:55]
	s_mov_b64 s[54:55], 0
	s_and_saveexec_b64 s[56:57], s[8:9]
	s_cbranch_execz .LBB25_39
; %bb.47:                               ;   in Loop: Header=BB25_40 Depth=3
	v_add_co_u32_e32 v42, vcc, v14, v11
	v_addc_co_u32_e32 v43, vcc, v16, v12, vcc
	global_load_dword v14, v[42:43], off
	v_add_u32_e32 v42, v37, v15
	v_ashrrev_i32_e32 v43, 31, v42
	v_lshlrev_b64 v[42:43], 1, v[42:43]
	v_mov_b32_e32 v16, s63
	v_add_co_u32_e32 v42, vcc, s62, v42
	v_addc_co_u32_e32 v43, vcc, v16, v43, vcc
	global_load_ushort v26, v[42:43], off
	s_waitcnt vmcnt(1)
	v_cmp_eq_u32_e32 vcc, v8, v14
	s_and_b64 s[54:55], vcc, exec
	s_branch .LBB25_39
.LBB25_48:                              ;   in Loop: Header=BB25_19 Depth=2
	s_or_b64 exec, exec, s[46:47]
.LBB25_49:                              ;   in Loop: Header=BB25_19 Depth=2
	s_or_b64 exec, exec, s[38:39]
	s_or_b64 exec, exec, s[36:37]
	s_and_saveexec_b64 s[36:37], s[2:3]
	s_cbranch_execz .LBB25_52
.LBB25_50:                              ;   in Loop: Header=BB25_19 Depth=2
	v_ashrrev_i32_e32 v10, 31, v8
	v_mul_lo_u32 v11, s29, v8
	v_mad_u64_u32 v[8:9], s[8:9], s28, v8, 0
	v_mul_lo_u32 v10, s28, v10
	s_mov_b64 s[38:39], 0
	v_mov_b32_e32 v14, v0
	v_add3_u32 v9, v9, v10, v11
	v_lshlrev_b64 v[8:9], 1, v[8:9]
	v_mov_b32_e32 v10, s59
	v_add_co_u32_e32 v12, vcc, s11, v8
	v_addc_co_u32_e32 v13, vcc, v10, v9, vcc
	v_mov_b32_e32 v11, v2
	v_mov_b32_e32 v8, v24
	;; [unrolled: 1-line block ×3, first 2 shown]
.LBB25_51:                              ;   Parent Loop BB25_13 Depth=1
                                        ;     Parent Loop BB25_19 Depth=2
                                        ; =>    This Inner Loop Header: Depth=3
	ds_read_b32 v37, v14
	v_mov_b32_e32 v9, 0
	ds_write_b32 v14, v9
	v_ashrrev_i32_e32 v9, 31, v8
	v_lshlrev_b64 v[15:16], 1, v[10:11]
	v_mov_b32_e32 v11, v9
	v_cmp_le_i64_e32 vcc, s[28:29], v[8:9]
	v_mov_b32_e32 v10, v8
	s_waitcnt lgkmcnt(1)
	v_bfe_u32 v9, v37, 16, 1
	v_add_co_u32_e64 v15, s[8:9], v12, v15
	s_or_b64 s[38:39], vcc, s[38:39]
	v_cmp_o_f32_e32 vcc, v37, v37
	v_add3_u32 v9, v37, v9, s73
	v_add_u32_e32 v14, s25, v14
	v_add_u32_e32 v8, s70, v8
	v_addc_co_u32_e64 v16, s[8:9], v13, v16, s[8:9]
	v_cndmask_b32_sdwa v9, v25, v9, vcc dst_sel:DWORD dst_unused:UNUSED_PAD src0_sel:DWORD src1_sel:WORD_1
	global_store_short v[15:16], v9, off
	s_andn2_b64 exec, exec, s[38:39]
	s_cbranch_execnz .LBB25_51
.LBB25_52:                              ;   in Loop: Header=BB25_19 Depth=2
	s_or_b64 exec, exec, s[36:37]
                                        ; implicit-def: $vgpr15
                                        ; implicit-def: $vgpr8
.LBB25_53:                              ;   in Loop: Header=BB25_19 Depth=2
	s_andn2_saveexec_b64 s[8:9], s[34:35]
	s_cbranch_execz .LBB25_18
; %bb.54:                               ;   in Loop: Header=BB25_19 Depth=2
	s_and_saveexec_b64 s[34:35], s[2:3]
	s_cbranch_execz .LBB25_17
; %bb.55:                               ;   in Loop: Header=BB25_19 Depth=2
	v_mul_lo_u32 v10, v15, s24
	v_ashrrev_i32_e32 v9, 31, v8
	v_mul_lo_u32 v15, s29, v8
	v_mul_lo_u32 v38, s28, v9
	v_mad_u64_u32 v[13:14], s[36:37], s28, v8, 0
	v_ashrrev_i32_e32 v11, 31, v10
	v_lshlrev_b64 v[11:12], 3, v[10:11]
	v_add3_u32 v14, v14, v38, v15
	v_add_co_u32_e32 v16, vcc, v33, v11
	v_addc_co_u32_e32 v37, vcc, v34, v12, vcc
	v_lshlrev_b64 v[11:12], 1, v[13:14]
	v_mov_b32_e32 v13, s59
	v_add_co_u32_e32 v38, vcc, s11, v11
	v_mov_b32_e32 v15, v2
	v_addc_co_u32_e32 v39, vcc, v13, v12, vcc
	v_add_u32_e32 v40, v10, v3
	s_mov_b64 s[36:37], 0
	v_mov_b32_e32 v10, v24
	v_mov_b32_e32 v12, v23
	;; [unrolled: 1-line block ×3, first 2 shown]
	s_branch .LBB25_57
.LBB25_56:                              ;   in Loop: Header=BB25_57 Depth=3
	s_or_b64 exec, exec, s[38:39]
	v_ashrrev_i32_e32 v11, 31, v10
	v_cmp_le_i64_e32 vcc, s[28:29], v[10:11]
	v_mov_b32_e32 v15, v11
	v_mov_b32_e32 v14, v10
	v_add_u32_e32 v12, s22, v12
	s_or_b64 s[36:37], vcc, s[36:37]
	v_add_u32_e32 v10, s70, v10
	s_andn2_b64 exec, exec, s[36:37]
	s_cbranch_execz .LBB25_17
.LBB25_57:                              ;   Parent Loop BB25_13 Depth=1
                                        ;     Parent Loop BB25_19 Depth=2
                                        ; =>    This Inner Loop Header: Depth=3
	v_ashrrev_i32_e32 v13, 31, v12
	v_lshlrev_b64 v[41:42], 3, v[12:13]
	v_add_co_u32_e32 v41, vcc, v16, v41
	v_addc_co_u32_e32 v42, vcc, v37, v42, vcc
	global_load_dwordx2 v[41:42], v[41:42], off
	s_waitcnt vmcnt(0)
	v_cmp_eq_u64_e32 vcc, v[41:42], v[8:9]
	s_and_saveexec_b64 s[38:39], vcc
	s_cbranch_execz .LBB25_56
; %bb.58:                               ;   in Loop: Header=BB25_57 Depth=3
	v_add_u32_e32 v41, v40, v12
	v_ashrrev_i32_e32 v42, 31, v41
	v_lshlrev_b64 v[41:42], 1, v[41:42]
	v_mov_b32_e32 v11, s63
	v_add_co_u32_e32 v41, vcc, s62, v41
	v_addc_co_u32_e32 v42, vcc, v11, v42, vcc
	global_load_ushort v11, v[41:42], off
	v_lshlrev_b64 v[13:14], 1, v[14:15]
	v_add_co_u32_e32 v13, vcc, v38, v13
	v_addc_co_u32_e32 v14, vcc, v39, v14, vcc
	s_waitcnt vmcnt(0)
	global_store_short v[13:14], v11, off
	s_branch .LBB25_56
.LBB25_59:
	s_endpgm
.LBB25_60:
                                        ; implicit-def: $sgpr2_sgpr3
	s_andn2_b64 vcc, exec, s[34:35]
	s_cbranch_vccz .LBB25_5
	s_branch .LBB25_6
.LBB25_61:
                                        ; implicit-def: $sgpr36_sgpr37
	s_andn2_b64 vcc, exec, s[34:35]
	s_cbranch_vccz .LBB25_8
	s_branch .LBB25_9
	.section	.rodata,"a",@progbits
	.p2align	6, 0x0
	.amdhsa_kernel _ZN2at6native12_GLOBAL__N_122max_pool_backward_nhwcIN3c108BFloat16EfEEvPKT_PKlillliiiiiiiiiiiiiiiPS5_
		.amdhsa_group_segment_fixed_size 0
		.amdhsa_private_segment_fixed_size 0
		.amdhsa_kernarg_size 376
		.amdhsa_user_sgpr_count 6
		.amdhsa_user_sgpr_private_segment_buffer 1
		.amdhsa_user_sgpr_dispatch_ptr 0
		.amdhsa_user_sgpr_queue_ptr 0
		.amdhsa_user_sgpr_kernarg_segment_ptr 1
		.amdhsa_user_sgpr_dispatch_id 0
		.amdhsa_user_sgpr_flat_scratch_init 0
		.amdhsa_user_sgpr_private_segment_size 0
		.amdhsa_uses_dynamic_stack 0
		.amdhsa_system_sgpr_private_segment_wavefront_offset 0
		.amdhsa_system_sgpr_workgroup_id_x 1
		.amdhsa_system_sgpr_workgroup_id_y 1
		.amdhsa_system_sgpr_workgroup_id_z 1
		.amdhsa_system_sgpr_workgroup_info 0
		.amdhsa_system_vgpr_workitem_id 2
		.amdhsa_next_free_vgpr 47
		.amdhsa_next_free_sgpr 74
		.amdhsa_reserve_vcc 1
		.amdhsa_reserve_flat_scratch 0
		.amdhsa_float_round_mode_32 0
		.amdhsa_float_round_mode_16_64 0
		.amdhsa_float_denorm_mode_32 3
		.amdhsa_float_denorm_mode_16_64 3
		.amdhsa_dx10_clamp 1
		.amdhsa_ieee_mode 1
		.amdhsa_fp16_overflow 0
		.amdhsa_exception_fp_ieee_invalid_op 0
		.amdhsa_exception_fp_denorm_src 0
		.amdhsa_exception_fp_ieee_div_zero 0
		.amdhsa_exception_fp_ieee_overflow 0
		.amdhsa_exception_fp_ieee_underflow 0
		.amdhsa_exception_fp_ieee_inexact 0
		.amdhsa_exception_int_div_zero 0
	.end_amdhsa_kernel
	.section	.text._ZN2at6native12_GLOBAL__N_122max_pool_backward_nhwcIN3c108BFloat16EfEEvPKT_PKlillliiiiiiiiiiiiiiiPS5_,"axG",@progbits,_ZN2at6native12_GLOBAL__N_122max_pool_backward_nhwcIN3c108BFloat16EfEEvPKT_PKlillliiiiiiiiiiiiiiiPS5_,comdat
.Lfunc_end25:
	.size	_ZN2at6native12_GLOBAL__N_122max_pool_backward_nhwcIN3c108BFloat16EfEEvPKT_PKlillliiiiiiiiiiiiiiiPS5_, .Lfunc_end25-_ZN2at6native12_GLOBAL__N_122max_pool_backward_nhwcIN3c108BFloat16EfEEvPKT_PKlillliiiiiiiiiiiiiiiPS5_
                                        ; -- End function
	.set _ZN2at6native12_GLOBAL__N_122max_pool_backward_nhwcIN3c108BFloat16EfEEvPKT_PKlillliiiiiiiiiiiiiiiPS5_.num_vgpr, 47
	.set _ZN2at6native12_GLOBAL__N_122max_pool_backward_nhwcIN3c108BFloat16EfEEvPKT_PKlillliiiiiiiiiiiiiiiPS5_.num_agpr, 0
	.set _ZN2at6native12_GLOBAL__N_122max_pool_backward_nhwcIN3c108BFloat16EfEEvPKT_PKlillliiiiiiiiiiiiiiiPS5_.numbered_sgpr, 74
	.set _ZN2at6native12_GLOBAL__N_122max_pool_backward_nhwcIN3c108BFloat16EfEEvPKT_PKlillliiiiiiiiiiiiiiiPS5_.num_named_barrier, 0
	.set _ZN2at6native12_GLOBAL__N_122max_pool_backward_nhwcIN3c108BFloat16EfEEvPKT_PKlillliiiiiiiiiiiiiiiPS5_.private_seg_size, 0
	.set _ZN2at6native12_GLOBAL__N_122max_pool_backward_nhwcIN3c108BFloat16EfEEvPKT_PKlillliiiiiiiiiiiiiiiPS5_.uses_vcc, 1
	.set _ZN2at6native12_GLOBAL__N_122max_pool_backward_nhwcIN3c108BFloat16EfEEvPKT_PKlillliiiiiiiiiiiiiiiPS5_.uses_flat_scratch, 0
	.set _ZN2at6native12_GLOBAL__N_122max_pool_backward_nhwcIN3c108BFloat16EfEEvPKT_PKlillliiiiiiiiiiiiiiiPS5_.has_dyn_sized_stack, 0
	.set _ZN2at6native12_GLOBAL__N_122max_pool_backward_nhwcIN3c108BFloat16EfEEvPKT_PKlillliiiiiiiiiiiiiiiPS5_.has_recursion, 0
	.set _ZN2at6native12_GLOBAL__N_122max_pool_backward_nhwcIN3c108BFloat16EfEEvPKT_PKlillliiiiiiiiiiiiiiiPS5_.has_indirect_call, 0
	.section	.AMDGPU.csdata,"",@progbits
; Kernel info:
; codeLenInByte = 4292
; TotalNumSgprs: 78
; NumVgprs: 47
; ScratchSize: 0
; MemoryBound: 0
; FloatMode: 240
; IeeeMode: 1
; LDSByteSize: 0 bytes/workgroup (compile time only)
; SGPRBlocks: 9
; VGPRBlocks: 11
; NumSGPRsForWavesPerEU: 78
; NumVGPRsForWavesPerEU: 47
; Occupancy: 5
; WaveLimiterHint : 0
; COMPUTE_PGM_RSRC2:SCRATCH_EN: 0
; COMPUTE_PGM_RSRC2:USER_SGPR: 6
; COMPUTE_PGM_RSRC2:TRAP_HANDLER: 0
; COMPUTE_PGM_RSRC2:TGID_X_EN: 1
; COMPUTE_PGM_RSRC2:TGID_Y_EN: 1
; COMPUTE_PGM_RSRC2:TGID_Z_EN: 1
; COMPUTE_PGM_RSRC2:TIDIG_COMP_CNT: 2
	.section	.text._ZN2at6native12_GLOBAL__N_122max_pool_backward_nchwIN3c108BFloat16EfiEEvPKT_PKlT1_SA_SA_SA_SA_SA_iiiiiiiiPS5_,"axG",@progbits,_ZN2at6native12_GLOBAL__N_122max_pool_backward_nchwIN3c108BFloat16EfiEEvPKT_PKlT1_SA_SA_SA_SA_SA_iiiiiiiiPS5_,comdat
	.globl	_ZN2at6native12_GLOBAL__N_122max_pool_backward_nchwIN3c108BFloat16EfiEEvPKT_PKlT1_SA_SA_SA_SA_SA_iiiiiiiiPS5_ ; -- Begin function _ZN2at6native12_GLOBAL__N_122max_pool_backward_nchwIN3c108BFloat16EfiEEvPKT_PKlT1_SA_SA_SA_SA_SA_iiiiiiiiPS5_
	.p2align	8
	.type	_ZN2at6native12_GLOBAL__N_122max_pool_backward_nchwIN3c108BFloat16EfiEEvPKT_PKlT1_SA_SA_SA_SA_SA_iiiiiiiiPS5_,@function
_ZN2at6native12_GLOBAL__N_122max_pool_backward_nchwIN3c108BFloat16EfiEEvPKT_PKlT1_SA_SA_SA_SA_SA_iiiiiiiiPS5_: ; @_ZN2at6native12_GLOBAL__N_122max_pool_backward_nchwIN3c108BFloat16EfiEEvPKT_PKlT1_SA_SA_SA_SA_SA_iiiiiiiiPS5_
; %bb.0:
	s_load_dword s0, s[4:5], 0x5c
	s_load_dwordx8 s[12:19], s[4:5], 0x10
	s_add_u32 s10, s4, 0x50
	s_addc_u32 s11, s5, 0
	v_mov_b32_e32 v1, 0
	s_waitcnt lgkmcnt(0)
	s_and_b32 s0, s0, 0xffff
	v_mov_b32_e32 v2, s6
	v_mad_u64_u32 v[0:1], s[2:3], s0, v2, v[0:1]
	s_mul_i32 s28, s15, s14
	s_ashr_i32 s29, s28, 31
	v_cmp_gt_i64_e32 vcc, s[28:29], v[0:1]
	s_and_saveexec_b64 s[2:3], vcc
	s_cbranch_execz .LBB26_23
; %bb.1:
	s_load_dwordx8 s[20:27], s[4:5], 0x30
	s_add_i32 s1, s18, -1
	s_add_i32 s2, s19, -1
	s_mul_i32 s52, s17, s16
	s_mul_i32 s53, s52, s13
	s_waitcnt lgkmcnt(0)
	s_mul_i32 s6, s24, s1
	s_mul_i32 s9, s25, s2
	s_not_b32 s14, s6
	s_not_b32 s33, s9
	s_cmp_lt_i32 s7, s12
	s_cselect_b64 s[18:19], -1, 0
	s_cmp_lt_i32 s8, s13
	s_cselect_b64 s[30:31], -1, 0
	s_abs_i32 s44, s15
	v_cvt_f32_u32_e32 v2, s44
	s_abs_i32 s45, s20
	v_cvt_f32_u32_e32 v3, s45
	s_abs_i32 s46, s21
	v_rcp_iflag_f32_e32 v2, v2
	v_cvt_f32_u32_e32 v4, s46
	v_rcp_iflag_f32_e32 v3, v3
	s_load_dwordx2 s[34:35], s[4:5], 0x48
	s_load_dword s1, s[10:11], 0x0
	v_mul_f32_e32 v2, 0x4f7ffffe, v2
	v_rcp_iflag_f32_e32 v4, v4
	v_cvt_u32_f32_e32 v2, v2
	v_mul_f32_e32 v3, 0x4f7ffffe, v3
	s_sub_i32 s2, 0, s44
	v_cvt_u32_f32_e32 v3, v3
	v_mul_f32_e32 v4, 0x4f7ffffe, v4
	v_mul_lo_u32 v5, s2, v2
	v_cvt_u32_f32_e32 v4, v4
	s_waitcnt lgkmcnt(0)
	s_mul_i32 s47, s1, s0
	s_sub_i32 s0, 0, s45
	v_mul_lo_u32 v6, s0, v3
	s_sub_i32 s0, 0, s46
	v_mul_hi_u32 v5, v2, v5
	v_mul_lo_u32 v7, s0, v4
	s_load_dwordx4 s[24:27], s[4:5], 0x0
	v_mul_hi_u32 v8, v3, v6
	v_add_u32_e32 v6, v2, v5
	v_mul_hi_u32 v2, v4, v7
	s_mul_i32 s0, s7, s13
	s_add_i32 s0, s8, s0
	s_ashr_i32 s48, s15, 31
	s_ashr_i32 s49, s20, 31
	v_add_u32_e32 v7, v3, v8
	s_ashr_i32 s50, s21, 31
	v_add_u32_e32 v8, v4, v2
	s_mul_i32 s51, s16, s0
	s_mov_b64 s[4:5], 0
	s_movk_i32 s54, 0x7fff
	v_mov_b32_e32 v9, 0x7fc0
	s_branch .LBB26_3
.LBB26_2:                               ;   in Loop: Header=BB26_3 Depth=1
	v_add_co_u32_e32 v0, vcc, s47, v0
	v_addc_co_u32_e32 v1, vcc, 0, v1, vcc
	v_cmp_le_i64_e32 vcc, s[28:29], v[0:1]
	s_or_b64 s[4:5], vcc, s[4:5]
	s_andn2_b64 exec, exec, s[4:5]
	s_cbranch_execz .LBB26_23
.LBB26_3:                               ; =>This Loop Header: Depth=1
                                        ;     Child Loop BB26_10 Depth 2
                                        ;       Child Loop BB26_14 Depth 3
                                        ;         Child Loop BB26_18 Depth 4
                                        ;           Child Loop BB26_21 Depth 5
	v_sub_u32_e32 v2, 0, v0
	v_max_i32_e32 v3, v0, v2
	v_mul_hi_u32 v4, v3, v6
	v_ashrrev_i32_e32 v5, 31, v0
	v_xor_b32_e32 v5, s48, v5
	v_mov_b32_e32 v2, 0
	v_mul_lo_u32 v10, v4, s44
	v_add_u32_e32 v11, 1, v4
	v_sub_u32_e32 v3, v3, v10
	v_cmp_le_u32_e32 vcc, s44, v3
	v_subrev_u32_e32 v10, s44, v3
	v_cndmask_b32_e32 v4, v4, v11, vcc
	v_cndmask_b32_e32 v3, v3, v10, vcc
	v_add_u32_e32 v10, 1, v4
	v_cmp_le_u32_e32 vcc, s44, v3
	v_cndmask_b32_e32 v3, v4, v10, vcc
	v_xor_b32_e32 v3, v3, v5
	v_sub_u32_e32 v4, v3, v5
	v_add_u32_e32 v3, s22, v4
	v_cmp_lt_i32_e32 vcc, s6, v3
	v_mov_b32_e32 v10, 0
	s_and_saveexec_b64 s[0:1], vcc
	s_cbranch_execz .LBB26_5
; %bb.4:                                ;   in Loop: Header=BB26_3 Depth=1
	v_add_u32_e32 v5, s14, v3
	v_sub_u32_e32 v10, 0, v5
	v_max_i32_e32 v10, v5, v10
	v_mul_hi_u32 v11, v10, v7
	v_ashrrev_i32_e32 v5, 31, v5
	v_xor_b32_e32 v5, s49, v5
	v_mul_lo_u32 v12, v11, s45
	v_add_u32_e32 v13, 1, v11
	v_sub_u32_e32 v10, v10, v12
	v_cmp_le_u32_e32 vcc, s45, v10
	v_subrev_u32_e32 v12, s45, v10
	v_cndmask_b32_e32 v11, v11, v13, vcc
	v_cndmask_b32_e32 v10, v10, v12, vcc
	v_add_u32_e32 v12, 1, v11
	v_cmp_le_u32_e32 vcc, s45, v10
	v_cndmask_b32_e32 v10, v11, v12, vcc
	v_xor_b32_e32 v10, v10, v5
	v_sub_u32_e32 v5, v10, v5
	v_add_u32_e32 v10, 1, v5
.LBB26_5:                               ;   in Loop: Header=BB26_3 Depth=1
	s_or_b64 exec, exec, s[0:1]
	v_mul_lo_u32 v4, v4, s15
	v_sub_u32_e32 v4, v0, v4
	v_add_u32_e32 v4, s23, v4
	v_cmp_lt_i32_e32 vcc, s9, v4
	s_and_saveexec_b64 s[0:1], vcc
	s_cbranch_execz .LBB26_7
; %bb.6:                                ;   in Loop: Header=BB26_3 Depth=1
	v_add_u32_e32 v2, s33, v4
	v_sub_u32_e32 v5, 0, v2
	v_max_i32_e32 v5, v2, v5
	v_mul_hi_u32 v11, v5, v8
	v_ashrrev_i32_e32 v2, 31, v2
	v_xor_b32_e32 v2, s50, v2
	v_mul_lo_u32 v12, v11, s46
	v_add_u32_e32 v13, 1, v11
	v_sub_u32_e32 v5, v5, v12
	v_cmp_le_u32_e32 vcc, s46, v5
	v_subrev_u32_e32 v12, s46, v5
	v_cndmask_b32_e32 v11, v11, v13, vcc
	v_cndmask_b32_e32 v5, v5, v12, vcc
	v_add_u32_e32 v12, 1, v11
	v_cmp_le_u32_e32 vcc, s46, v5
	v_cndmask_b32_e32 v5, v11, v12, vcc
	v_xor_b32_e32 v5, v5, v2
	v_sub_u32_e32 v2, v5, v2
	v_add_u32_e32 v2, 1, v2
.LBB26_7:                               ;   in Loop: Header=BB26_3 Depth=1
	s_or_b64 exec, exec, s[0:1]
	s_andn2_b64 vcc, exec, s[18:19]
	s_cbranch_vccnz .LBB26_2
; %bb.8:                                ;   in Loop: Header=BB26_3 Depth=1
	v_sub_u32_e32 v5, 0, v4
	v_max_i32_e32 v5, v4, v5
	v_mul_hi_u32 v11, v5, v8
	v_ashrrev_i32_e32 v4, 31, v4
	v_xor_b32_e32 v4, s50, v4
	s_load_dword s55, s[10:11], 0x4
	v_mul_lo_u32 v12, v11, s46
	v_add_u32_e32 v13, 1, v11
	s_mov_b32 s57, s7
	s_waitcnt lgkmcnt(0)
	s_mul_i32 s56, s53, s55
	v_sub_u32_e32 v5, v5, v12
	v_cmp_le_u32_e32 vcc, s46, v5
	v_subrev_u32_e32 v12, s46, v5
	v_cndmask_b32_e32 v11, v11, v13, vcc
	v_cndmask_b32_e32 v5, v5, v12, vcc
	v_add_u32_e32 v12, 1, v11
	v_cmp_le_u32_e32 vcc, s46, v5
	v_cndmask_b32_e32 v5, v11, v12, vcc
	v_sub_u32_e32 v11, 0, v3
	v_max_i32_e32 v12, v3, v11
	v_mul_hi_u32 v13, v12, v7
	v_xor_b32_e32 v5, v5, v4
	v_sub_u32_e32 v4, v5, v4
	v_add_u32_e32 v4, 1, v4
	v_mul_lo_u32 v5, v13, s45
	v_min_i32_e32 v11, s17, v4
	v_ashrrev_i32_e32 v3, 31, v3
	v_xor_b32_e32 v3, s49, v3
	v_sub_u32_e32 v4, v12, v5
	v_add_u32_e32 v5, 1, v13
	v_cmp_le_u32_e32 vcc, s45, v4
	v_subrev_u32_e32 v12, s45, v4
	v_cndmask_b32_e32 v5, v13, v5, vcc
	v_cndmask_b32_e32 v4, v4, v12, vcc
	v_add_u32_e32 v12, 1, v5
	v_cmp_le_u32_e32 vcc, s45, v4
	v_cndmask_b32_e32 v4, v5, v12, vcc
	v_xor_b32_e32 v4, v4, v3
	v_sub_u32_e32 v3, v4, v3
	v_add_u32_e32 v3, 1, v3
	v_min_i32_e32 v12, s16, v3
	v_add_u32_e32 v3, s51, v10
	v_mad_u64_u32 v[3:4], s[2:3], s17, v3, v[2:3]
	v_cmp_lt_i32_e64 s[0:1], v10, v12
	v_cmp_lt_i32_e64 s[2:3], v2, v11
	s_branch .LBB26_10
.LBB26_9:                               ;   in Loop: Header=BB26_10 Depth=2
	s_add_i32 s57, s55, s57
	s_cmp_ge_i32 s57, s12
	v_add_u32_e32 v3, s56, v3
	s_cbranch_scc1 .LBB26_2
.LBB26_10:                              ;   Parent Loop BB26_3 Depth=1
                                        ; =>  This Loop Header: Depth=2
                                        ;       Child Loop BB26_14 Depth 3
                                        ;         Child Loop BB26_18 Depth 4
                                        ;           Child Loop BB26_21 Depth 5
	s_andn2_b64 vcc, exec, s[30:31]
	s_cbranch_vccnz .LBB26_9
; %bb.11:                               ;   in Loop: Header=BB26_10 Depth=2
	s_load_dword s58, s[10:11], 0x8
	s_mul_i32 s59, s57, s13
	v_mov_b32_e32 v13, v3
	s_mov_b32 s61, s8
	s_waitcnt lgkmcnt(0)
	s_mul_i32 s60, s52, s58
	s_branch .LBB26_14
.LBB26_12:                              ;   in Loop: Header=BB26_14 Depth=3
	s_or_b64 exec, exec, s[36:37]
.LBB26_13:                              ;   in Loop: Header=BB26_14 Depth=3
	s_or_b64 exec, exec, s[20:21]
	s_add_i32 s20, s61, s59
	v_bfe_u32 v4, v14, 16, 1
	v_add3_u32 v4, v14, v4, s54
	v_cmp_o_f32_e32 vcc, v14, v14
	s_mul_i32 s20, s28, s20
	v_cndmask_b32_sdwa v14, v9, v4, vcc dst_sel:DWORD dst_unused:UNUSED_PAD src0_sel:DWORD src1_sel:WORD_1
	v_add_u32_e32 v4, s20, v0
	v_ashrrev_i32_e32 v5, 31, v4
	v_lshlrev_b64 v[4:5], 1, v[4:5]
	v_mov_b32_e32 v15, s35
	v_add_co_u32_e32 v4, vcc, s34, v4
	s_add_i32 s61, s58, s61
	v_addc_co_u32_e32 v5, vcc, v15, v5, vcc
	s_cmp_ge_i32 s61, s13
	v_add_u32_e32 v13, s60, v13
	global_store_short v[4:5], v14, off
	s_cbranch_scc1 .LBB26_9
.LBB26_14:                              ;   Parent Loop BB26_3 Depth=1
                                        ;     Parent Loop BB26_10 Depth=2
                                        ; =>    This Loop Header: Depth=3
                                        ;         Child Loop BB26_18 Depth 4
                                        ;           Child Loop BB26_21 Depth 5
	v_mov_b32_e32 v14, 0
	s_and_saveexec_b64 s[20:21], s[0:1]
	s_cbranch_execz .LBB26_13
; %bb.15:                               ;   in Loop: Header=BB26_14 Depth=3
	v_mov_b32_e32 v14, 0
	s_mov_b64 s[36:37], 0
	v_mov_b32_e32 v15, v13
	v_mov_b32_e32 v16, v10
	s_branch .LBB26_18
.LBB26_16:                              ;   in Loop: Header=BB26_18 Depth=4
	s_or_b64 exec, exec, s[40:41]
.LBB26_17:                              ;   in Loop: Header=BB26_18 Depth=4
	s_or_b64 exec, exec, s[38:39]
	v_add_u32_e32 v16, 1, v16
	v_cmp_ge_i32_e32 vcc, v16, v12
	s_or_b64 s[36:37], vcc, s[36:37]
	v_add_u32_e32 v15, s17, v15
	s_andn2_b64 exec, exec, s[36:37]
	s_cbranch_execz .LBB26_12
.LBB26_18:                              ;   Parent Loop BB26_3 Depth=1
                                        ;     Parent Loop BB26_10 Depth=2
                                        ;       Parent Loop BB26_14 Depth=3
                                        ; =>      This Loop Header: Depth=4
                                        ;           Child Loop BB26_21 Depth 5
	s_and_saveexec_b64 s[38:39], s[2:3]
	s_cbranch_execz .LBB26_17
; %bb.19:                               ;   in Loop: Header=BB26_18 Depth=4
	s_mov_b64 s[40:41], 0
	v_mov_b32_e32 v4, v15
	v_mov_b32_e32 v17, v2
	s_branch .LBB26_21
.LBB26_20:                              ;   in Loop: Header=BB26_21 Depth=5
	s_or_b64 exec, exec, s[42:43]
	v_add_u32_e32 v17, 1, v17
	v_cmp_ge_i32_e32 vcc, v17, v11
	s_or_b64 s[40:41], vcc, s[40:41]
	v_add_u32_e32 v4, 1, v4
	s_andn2_b64 exec, exec, s[40:41]
	s_cbranch_execz .LBB26_16
.LBB26_21:                              ;   Parent Loop BB26_3 Depth=1
                                        ;     Parent Loop BB26_10 Depth=2
                                        ;       Parent Loop BB26_14 Depth=3
                                        ;         Parent Loop BB26_18 Depth=4
                                        ; =>        This Inner Loop Header: Depth=5
	v_ashrrev_i32_e32 v5, 31, v4
	v_lshlrev_b64 v[18:19], 3, v[4:5]
	v_mov_b32_e32 v20, s27
	v_add_co_u32_e32 v18, vcc, s26, v18
	v_addc_co_u32_e32 v19, vcc, v20, v19, vcc
	global_load_dwordx2 v[18:19], v[18:19], off
	s_waitcnt vmcnt(0)
	v_cmp_eq_u64_e32 vcc, v[18:19], v[0:1]
	s_and_saveexec_b64 s[42:43], vcc
	s_cbranch_execz .LBB26_20
; %bb.22:                               ;   in Loop: Header=BB26_21 Depth=5
	v_lshlrev_b64 v[18:19], 1, v[4:5]
	v_mov_b32_e32 v5, s25
	v_add_co_u32_e32 v18, vcc, s24, v18
	v_addc_co_u32_e32 v19, vcc, v5, v19, vcc
	global_load_ushort v5, v[18:19], off
	s_waitcnt vmcnt(0)
	v_lshlrev_b32_e32 v5, 16, v5
	v_add_f32_e32 v14, v14, v5
	s_branch .LBB26_20
.LBB26_23:
	s_endpgm
	.section	.rodata,"a",@progbits
	.p2align	6, 0x0
	.amdhsa_kernel _ZN2at6native12_GLOBAL__N_122max_pool_backward_nchwIN3c108BFloat16EfiEEvPKT_PKlT1_SA_SA_SA_SA_SA_iiiiiiiiPS5_
		.amdhsa_group_segment_fixed_size 0
		.amdhsa_private_segment_fixed_size 0
		.amdhsa_kernarg_size 336
		.amdhsa_user_sgpr_count 6
		.amdhsa_user_sgpr_private_segment_buffer 1
		.amdhsa_user_sgpr_dispatch_ptr 0
		.amdhsa_user_sgpr_queue_ptr 0
		.amdhsa_user_sgpr_kernarg_segment_ptr 1
		.amdhsa_user_sgpr_dispatch_id 0
		.amdhsa_user_sgpr_flat_scratch_init 0
		.amdhsa_user_sgpr_private_segment_size 0
		.amdhsa_uses_dynamic_stack 0
		.amdhsa_system_sgpr_private_segment_wavefront_offset 0
		.amdhsa_system_sgpr_workgroup_id_x 1
		.amdhsa_system_sgpr_workgroup_id_y 1
		.amdhsa_system_sgpr_workgroup_id_z 1
		.amdhsa_system_sgpr_workgroup_info 0
		.amdhsa_system_vgpr_workitem_id 0
		.amdhsa_next_free_vgpr 21
		.amdhsa_next_free_sgpr 62
		.amdhsa_reserve_vcc 1
		.amdhsa_reserve_flat_scratch 0
		.amdhsa_float_round_mode_32 0
		.amdhsa_float_round_mode_16_64 0
		.amdhsa_float_denorm_mode_32 3
		.amdhsa_float_denorm_mode_16_64 3
		.amdhsa_dx10_clamp 1
		.amdhsa_ieee_mode 1
		.amdhsa_fp16_overflow 0
		.amdhsa_exception_fp_ieee_invalid_op 0
		.amdhsa_exception_fp_denorm_src 0
		.amdhsa_exception_fp_ieee_div_zero 0
		.amdhsa_exception_fp_ieee_overflow 0
		.amdhsa_exception_fp_ieee_underflow 0
		.amdhsa_exception_fp_ieee_inexact 0
		.amdhsa_exception_int_div_zero 0
	.end_amdhsa_kernel
	.section	.text._ZN2at6native12_GLOBAL__N_122max_pool_backward_nchwIN3c108BFloat16EfiEEvPKT_PKlT1_SA_SA_SA_SA_SA_iiiiiiiiPS5_,"axG",@progbits,_ZN2at6native12_GLOBAL__N_122max_pool_backward_nchwIN3c108BFloat16EfiEEvPKT_PKlT1_SA_SA_SA_SA_SA_iiiiiiiiPS5_,comdat
.Lfunc_end26:
	.size	_ZN2at6native12_GLOBAL__N_122max_pool_backward_nchwIN3c108BFloat16EfiEEvPKT_PKlT1_SA_SA_SA_SA_SA_iiiiiiiiPS5_, .Lfunc_end26-_ZN2at6native12_GLOBAL__N_122max_pool_backward_nchwIN3c108BFloat16EfiEEvPKT_PKlT1_SA_SA_SA_SA_SA_iiiiiiiiPS5_
                                        ; -- End function
	.set _ZN2at6native12_GLOBAL__N_122max_pool_backward_nchwIN3c108BFloat16EfiEEvPKT_PKlT1_SA_SA_SA_SA_SA_iiiiiiiiPS5_.num_vgpr, 21
	.set _ZN2at6native12_GLOBAL__N_122max_pool_backward_nchwIN3c108BFloat16EfiEEvPKT_PKlT1_SA_SA_SA_SA_SA_iiiiiiiiPS5_.num_agpr, 0
	.set _ZN2at6native12_GLOBAL__N_122max_pool_backward_nchwIN3c108BFloat16EfiEEvPKT_PKlT1_SA_SA_SA_SA_SA_iiiiiiiiPS5_.numbered_sgpr, 62
	.set _ZN2at6native12_GLOBAL__N_122max_pool_backward_nchwIN3c108BFloat16EfiEEvPKT_PKlT1_SA_SA_SA_SA_SA_iiiiiiiiPS5_.num_named_barrier, 0
	.set _ZN2at6native12_GLOBAL__N_122max_pool_backward_nchwIN3c108BFloat16EfiEEvPKT_PKlT1_SA_SA_SA_SA_SA_iiiiiiiiPS5_.private_seg_size, 0
	.set _ZN2at6native12_GLOBAL__N_122max_pool_backward_nchwIN3c108BFloat16EfiEEvPKT_PKlT1_SA_SA_SA_SA_SA_iiiiiiiiPS5_.uses_vcc, 1
	.set _ZN2at6native12_GLOBAL__N_122max_pool_backward_nchwIN3c108BFloat16EfiEEvPKT_PKlT1_SA_SA_SA_SA_SA_iiiiiiiiPS5_.uses_flat_scratch, 0
	.set _ZN2at6native12_GLOBAL__N_122max_pool_backward_nchwIN3c108BFloat16EfiEEvPKT_PKlT1_SA_SA_SA_SA_SA_iiiiiiiiPS5_.has_dyn_sized_stack, 0
	.set _ZN2at6native12_GLOBAL__N_122max_pool_backward_nchwIN3c108BFloat16EfiEEvPKT_PKlT1_SA_SA_SA_SA_SA_iiiiiiiiPS5_.has_recursion, 0
	.set _ZN2at6native12_GLOBAL__N_122max_pool_backward_nchwIN3c108BFloat16EfiEEvPKT_PKlT1_SA_SA_SA_SA_SA_iiiiiiiiPS5_.has_indirect_call, 0
	.section	.AMDGPU.csdata,"",@progbits
; Kernel info:
; codeLenInByte = 1276
; TotalNumSgprs: 66
; NumVgprs: 21
; ScratchSize: 0
; MemoryBound: 0
; FloatMode: 240
; IeeeMode: 1
; LDSByteSize: 0 bytes/workgroup (compile time only)
; SGPRBlocks: 8
; VGPRBlocks: 5
; NumSGPRsForWavesPerEU: 66
; NumVGPRsForWavesPerEU: 21
; Occupancy: 10
; WaveLimiterHint : 0
; COMPUTE_PGM_RSRC2:SCRATCH_EN: 0
; COMPUTE_PGM_RSRC2:USER_SGPR: 6
; COMPUTE_PGM_RSRC2:TRAP_HANDLER: 0
; COMPUTE_PGM_RSRC2:TGID_X_EN: 1
; COMPUTE_PGM_RSRC2:TGID_Y_EN: 1
; COMPUTE_PGM_RSRC2:TGID_Z_EN: 1
; COMPUTE_PGM_RSRC2:TIDIG_COMP_CNT: 0
	.section	.text._ZN2at6native12_GLOBAL__N_122max_pool_backward_nchwIN3c108BFloat16EflEEvPKT_PKlT1_SA_SA_SA_SA_SA_iiiiiiiiPS5_,"axG",@progbits,_ZN2at6native12_GLOBAL__N_122max_pool_backward_nchwIN3c108BFloat16EflEEvPKT_PKlT1_SA_SA_SA_SA_SA_iiiiiiiiPS5_,comdat
	.globl	_ZN2at6native12_GLOBAL__N_122max_pool_backward_nchwIN3c108BFloat16EflEEvPKT_PKlT1_SA_SA_SA_SA_SA_iiiiiiiiPS5_ ; -- Begin function _ZN2at6native12_GLOBAL__N_122max_pool_backward_nchwIN3c108BFloat16EflEEvPKT_PKlT1_SA_SA_SA_SA_SA_iiiiiiiiPS5_
	.p2align	8
	.type	_ZN2at6native12_GLOBAL__N_122max_pool_backward_nchwIN3c108BFloat16EflEEvPKT_PKlT1_SA_SA_SA_SA_SA_iiiiiiiiPS5_,@function
_ZN2at6native12_GLOBAL__N_122max_pool_backward_nchwIN3c108BFloat16EflEEvPKT_PKlT1_SA_SA_SA_SA_SA_iiiiiiiiPS5_: ; @_ZN2at6native12_GLOBAL__N_122max_pool_backward_nchwIN3c108BFloat16EflEEvPKT_PKlT1_SA_SA_SA_SA_SA_iiiiiiiiPS5_
; %bb.0:
	s_load_dword s0, s[4:5], 0x74
	s_load_dwordx16 s[12:27], s[4:5], 0x0
	s_add_u32 s30, s4, 0x68
	v_mov_b32_e32 v2, 0
	s_mov_b32 s28, s7
	s_addc_u32 s31, s5, 0
	s_waitcnt lgkmcnt(0)
	s_and_b32 s7, s0, 0xffff
	v_mov_b32_e32 v1, v2
	v_mov_b32_e32 v3, s6
	v_mad_u64_u32 v[0:1], s[0:1], s7, v3, v[0:1]
	s_mul_i32 s0, s22, s21
	s_mul_hi_u32 s1, s22, s20
	s_add_i32 s0, s1, s0
	s_mul_i32 s1, s23, s20
	s_add_i32 s21, s0, s1
	s_mul_i32 s20, s22, s20
	v_cmp_gt_i64_e32 vcc, s[20:21], v[0:1]
	s_and_saveexec_b64 s[0:1], vcc
	s_cbranch_execz .LBB27_43
; %bb.1:
	s_load_dwordx8 s[40:47], s[4:5], 0x40
	s_load_dwordx2 s[34:35], s[4:5], 0x60
	s_load_dword s6, s[30:31], 0x0
	s_mul_i32 s4, s19, s28
	s_mul_hi_u32 s5, s18, s28
	s_waitcnt lgkmcnt(0)
	s_add_i32 s0, s40, -1
	s_mul_i32 s0, s46, s0
	s_add_i32 s36, s0, 1
	s_add_i32 s0, s41, -1
	s_mul_i32 s0, s47, s0
	s_add_i32 s38, s0, 1
	s_ashr_i32 s33, s44, 31
	s_ashr_i32 s37, s36, 31
	;; [unrolled: 1-line block ×6, first 2 shown]
	s_add_i32 s5, s5, s4
	s_mul_i32 s4, s18, s28
	s_add_u32 s4, s4, s8
	s_addc_u32 s5, s5, 0
	s_mul_i32 s73, s6, s7
	s_mul_i32 s5, s24, s5
	s_mul_hi_u32 s6, s24, s4
	s_add_i32 s5, s6, s5
	s_mul_i32 s6, s25, s4
	s_add_i32 s74, s5, s6
	s_mul_i32 s75, s24, s4
	s_mul_i32 s4, s26, s25
	s_mul_hi_u32 s5, s26, s24
	s_mov_b32 s29, 0
	v_mov_b32_e32 v3, s28
	s_add_i32 s4, s5, s4
	s_mul_i32 s5, s27, s24
	v_mov_b32_e32 v4, s29
	s_add_i32 s5, s4, s5
	s_mul_i32 s4, s26, s24
	v_cmp_gt_i64_e64 s[0:1], s[16:17], v[3:4]
	s_mov_b32 s9, s29
	v_mov_b32_e32 v3, s8
	s_mul_i32 s6, s4, s19
	s_mul_hi_u32 s7, s4, s18
	v_mov_b32_e32 v4, s9
	s_add_i32 s6, s7, s6
	s_mul_i32 s7, s5, s18
	v_cmp_gt_i64_e64 s[2:3], s[18:19], v[3:4]
	s_add_i32 s7, s6, s7
	s_mul_i32 s6, s4, s18
	s_mov_b32 s66, s44
	s_mov_b32 s68, s42
	;; [unrolled: 1-line block ×4, first 2 shown]
	s_lshl_b64 s[40:41], s[6:7], 3
	s_lshl_b64 s[42:43], s[4:5], 3
	s_lshl_b64 s[44:45], s[26:27], 3
	s_lshl_b64 s[46:47], s[6:7], 1
	s_lshl_b64 s[48:49], s[4:5], 1
	s_lshl_b64 s[50:51], s[26:27], 1
	s_mov_b64 s[52:53], 0
	s_movk_i32 s76, 0x7fff
	s_branch .LBB27_3
.LBB27_2:                               ;   in Loop: Header=BB27_3 Depth=1
	v_add_co_u32_e32 v0, vcc, s73, v0
	v_addc_co_u32_e32 v1, vcc, 0, v1, vcc
	v_cmp_le_i64_e32 vcc, s[20:21], v[0:1]
	s_or_b64 s[52:53], vcc, s[52:53]
	s_andn2_b64 exec, exec, s[52:53]
	s_cbranch_execz .LBB27_43
.LBB27_3:                               ; =>This Loop Header: Depth=1
                                        ;     Child Loop BB27_30 Depth 2
                                        ;       Child Loop BB27_34 Depth 3
                                        ;         Child Loop BB27_38 Depth 4
                                        ;           Child Loop BB27_41 Depth 5
	v_or_b32_e32 v3, s23, v1
	v_cmp_ne_u64_e32 vcc, 0, v[2:3]
                                        ; implicit-def: $vgpr6_vgpr7
	s_and_saveexec_b64 s[4:5], vcc
	s_xor_b64 s[6:7], exec, s[4:5]
	s_cbranch_execz .LBB27_5
; %bb.4:                                ;   in Loop: Header=BB27_3 Depth=1
	s_ashr_i32 s10, s23, 31
	s_add_u32 s4, s22, s10
	s_mov_b32 s11, s10
	s_addc_u32 s5, s23, s10
	s_xor_b64 s[54:55], s[4:5], s[10:11]
	v_cvt_f32_u32_e32 v3, s54
	v_cvt_f32_u32_e32 v4, s55
	s_sub_u32 s11, 0, s54
	s_subb_u32 s56, 0, s55
	v_ashrrev_i32_e32 v7, 31, v1
	v_mac_f32_e32 v3, 0x4f800000, v4
	v_rcp_f32_e32 v3, v3
	v_mul_f32_e32 v3, 0x5f7ffffc, v3
	v_mul_f32_e32 v4, 0x2f800000, v3
	v_trunc_f32_e32 v4, v4
	v_mac_f32_e32 v3, 0xcf800000, v4
	v_cvt_u32_f32_e32 v4, v4
	v_cvt_u32_f32_e32 v3, v3
	v_readfirstlane_b32 s57, v4
	v_readfirstlane_b32 s4, v3
	s_mul_i32 s5, s11, s57
	s_mul_hi_u32 s59, s11, s4
	s_mul_i32 s58, s56, s4
	s_add_i32 s5, s59, s5
	s_add_i32 s5, s5, s58
	s_mul_i32 s60, s11, s4
	s_mul_i32 s59, s4, s5
	s_mul_hi_u32 s61, s4, s60
	s_mul_hi_u32 s58, s4, s5
	s_add_u32 s59, s61, s59
	s_addc_u32 s58, 0, s58
	s_mul_hi_u32 s62, s57, s60
	s_mul_i32 s60, s57, s60
	s_add_u32 s59, s59, s60
	s_mul_hi_u32 s61, s57, s5
	s_addc_u32 s58, s58, s62
	s_addc_u32 s59, s61, 0
	s_mul_i32 s5, s57, s5
	s_add_u32 s5, s58, s5
	s_addc_u32 s58, 0, s59
	s_add_u32 s59, s4, s5
	s_cselect_b64 s[4:5], -1, 0
	s_cmp_lg_u64 s[4:5], 0
	s_addc_u32 s57, s57, s58
	s_mul_i32 s4, s11, s57
	s_mul_hi_u32 s5, s11, s59
	s_add_i32 s4, s5, s4
	s_mul_i32 s56, s56, s59
	s_add_i32 s4, s4, s56
	s_mul_i32 s11, s11, s59
	s_mul_hi_u32 s56, s57, s11
	s_mul_i32 s58, s57, s11
	s_mul_i32 s61, s59, s4
	s_mul_hi_u32 s11, s59, s11
	s_mul_hi_u32 s60, s59, s4
	s_add_u32 s11, s11, s61
	s_addc_u32 s60, 0, s60
	s_add_u32 s11, s11, s58
	s_mul_hi_u32 s5, s57, s4
	s_addc_u32 s11, s60, s56
	s_addc_u32 s5, s5, 0
	s_mul_i32 s4, s57, s4
	s_add_u32 s4, s11, s4
	s_addc_u32 s11, 0, s5
	s_add_u32 s56, s59, s4
	s_cselect_b64 s[4:5], -1, 0
	s_cmp_lg_u64 s[4:5], 0
	v_add_co_u32_e32 v3, vcc, v0, v7
	s_addc_u32 s11, s57, s11
	v_xor_b32_e32 v8, v3, v7
	v_mad_u64_u32 v[3:4], s[4:5], v8, s11, 0
	v_mul_hi_u32 v6, v8, s56
	v_addc_co_u32_e32 v5, vcc, v1, v7, vcc
	v_xor_b32_e32 v9, v5, v7
	v_add_co_u32_e32 v10, vcc, v6, v3
	v_addc_co_u32_e32 v11, vcc, 0, v4, vcc
	v_mad_u64_u32 v[3:4], s[4:5], v9, s56, 0
	v_mad_u64_u32 v[5:6], s[4:5], v9, s11, 0
	v_add_co_u32_e32 v3, vcc, v10, v3
	v_addc_co_u32_e32 v3, vcc, v11, v4, vcc
	v_addc_co_u32_e32 v4, vcc, 0, v6, vcc
	v_add_co_u32_e32 v5, vcc, v3, v5
	v_addc_co_u32_e32 v6, vcc, 0, v4, vcc
	v_mul_lo_u32 v10, s55, v5
	v_mul_lo_u32 v11, s54, v6
	v_mad_u64_u32 v[3:4], s[4:5], s54, v5, 0
	v_add3_u32 v4, v4, v11, v10
	v_sub_u32_e32 v10, v9, v4
	v_mov_b32_e32 v11, s55
	v_sub_co_u32_e32 v3, vcc, v8, v3
	v_subb_co_u32_e64 v8, s[4:5], v10, v11, vcc
	v_subrev_co_u32_e64 v10, s[4:5], s54, v3
	v_subbrev_co_u32_e64 v8, s[4:5], 0, v8, s[4:5]
	v_cmp_le_u32_e64 s[4:5], s55, v8
	v_cndmask_b32_e64 v11, 0, -1, s[4:5]
	v_cmp_le_u32_e64 s[4:5], s54, v10
	v_cndmask_b32_e64 v10, 0, -1, s[4:5]
	v_cmp_eq_u32_e64 s[4:5], s55, v8
	v_cndmask_b32_e64 v8, v11, v10, s[4:5]
	v_add_co_u32_e64 v10, s[4:5], 2, v5
	v_subb_co_u32_e32 v4, vcc, v9, v4, vcc
	v_addc_co_u32_e64 v11, s[4:5], 0, v6, s[4:5]
	v_cmp_le_u32_e32 vcc, s55, v4
	v_add_co_u32_e64 v12, s[4:5], 1, v5
	v_cndmask_b32_e64 v9, 0, -1, vcc
	v_cmp_le_u32_e32 vcc, s54, v3
	v_addc_co_u32_e64 v13, s[4:5], 0, v6, s[4:5]
	v_cndmask_b32_e64 v3, 0, -1, vcc
	v_cmp_eq_u32_e32 vcc, s55, v4
	v_cmp_ne_u32_e64 s[4:5], 0, v8
	v_cndmask_b32_e32 v3, v9, v3, vcc
	v_cmp_ne_u32_e32 vcc, 0, v3
	v_cndmask_b32_e64 v4, v12, v10, s[4:5]
	v_cndmask_b32_e64 v8, v13, v11, s[4:5]
	v_cndmask_b32_e32 v4, v5, v4, vcc
	v_xor_b32_e32 v5, s10, v7
	v_cndmask_b32_e32 v3, v6, v8, vcc
	v_xor_b32_e32 v4, v4, v5
	v_xor_b32_e32 v3, v3, v5
	v_sub_co_u32_e32 v6, vcc, v4, v5
	v_subb_co_u32_e32 v7, vcc, v3, v5, vcc
.LBB27_5:                               ;   in Loop: Header=BB27_3 Depth=1
	s_andn2_saveexec_b64 s[4:5], s[6:7]
	s_cbranch_execz .LBB27_7
; %bb.6:                                ;   in Loop: Header=BB27_3 Depth=1
	v_cvt_f32_u32_e32 v3, s22
	s_sub_i32 s6, 0, s22
	v_mov_b32_e32 v7, v2
	v_rcp_iflag_f32_e32 v3, v3
	v_mul_f32_e32 v3, 0x4f7ffffe, v3
	v_cvt_u32_f32_e32 v3, v3
	v_mul_lo_u32 v4, s6, v3
	v_mul_hi_u32 v4, v3, v4
	v_add_u32_e32 v3, v3, v4
	v_mul_hi_u32 v3, v0, v3
	v_mul_lo_u32 v4, v3, s22
	v_add_u32_e32 v5, 1, v3
	v_sub_u32_e32 v4, v0, v4
	v_subrev_u32_e32 v6, s22, v4
	v_cmp_le_u32_e32 vcc, s22, v4
	v_cndmask_b32_e32 v4, v4, v6, vcc
	v_cndmask_b32_e32 v3, v3, v5, vcc
	v_add_u32_e32 v5, 1, v3
	v_cmp_le_u32_e32 vcc, s22, v4
	v_cndmask_b32_e32 v6, v3, v5, vcc
.LBB27_7:                               ;   in Loop: Header=BB27_3 Depth=1
	s_or_b64 exec, exec, s[4:5]
	v_mov_b32_e32 v3, s33
	v_add_co_u32_e32 v10, vcc, s66, v6
	v_addc_co_u32_e32 v11, vcc, v7, v3, vcc
	v_cmp_le_i64_e32 vcc, s[36:37], v[10:11]
	v_mov_b32_e32 v4, 0
	v_mov_b32_e32 v5, 0
	s_and_saveexec_b64 s[6:7], vcc
	s_cbranch_execz .LBB27_13
; %bb.8:                                ;   in Loop: Header=BB27_3 Depth=1
	v_mov_b32_e32 v3, s37
	v_subrev_co_u32_e32 v8, vcc, s36, v10
	v_subb_co_u32_e32 v9, vcc, v11, v3, vcc
	v_or_b32_e32 v3, s67, v9
	v_cmp_ne_u64_e32 vcc, 0, v[2:3]
                                        ; implicit-def: $vgpr4_vgpr5
	s_and_saveexec_b64 s[4:5], vcc
	s_xor_b64 s[10:11], exec, s[4:5]
	s_cbranch_execz .LBB27_10
; %bb.9:                                ;   in Loop: Header=BB27_3 Depth=1
	s_ashr_i32 s54, s67, 31
	s_add_u32 s4, s68, s54
	s_mov_b32 s55, s54
	s_addc_u32 s5, s67, s54
	s_xor_b64 s[56:57], s[4:5], s[54:55]
	v_cvt_f32_u32_e32 v3, s56
	v_cvt_f32_u32_e32 v4, s57
	s_sub_u32 s55, 0, s56
	s_subb_u32 s58, 0, s57
	v_ashrrev_i32_e32 v5, 31, v9
	v_mac_f32_e32 v3, 0x4f800000, v4
	v_rcp_f32_e32 v3, v3
	v_mul_f32_e32 v3, 0x5f7ffffc, v3
	v_mul_f32_e32 v4, 0x2f800000, v3
	v_trunc_f32_e32 v4, v4
	v_mac_f32_e32 v3, 0xcf800000, v4
	v_cvt_u32_f32_e32 v4, v4
	v_cvt_u32_f32_e32 v3, v3
	v_readfirstlane_b32 s59, v4
	v_readfirstlane_b32 s4, v3
	s_mul_i32 s5, s55, s59
	s_mul_hi_u32 s61, s55, s4
	s_mul_i32 s60, s58, s4
	s_add_i32 s5, s61, s5
	s_add_i32 s5, s5, s60
	s_mul_i32 s62, s55, s4
	s_mul_i32 s61, s4, s5
	s_mul_hi_u32 s63, s4, s62
	s_mul_hi_u32 s60, s4, s5
	s_add_u32 s61, s63, s61
	s_addc_u32 s60, 0, s60
	s_mul_hi_u32 s64, s59, s62
	s_mul_i32 s62, s59, s62
	s_add_u32 s61, s61, s62
	s_mul_hi_u32 s63, s59, s5
	s_addc_u32 s60, s60, s64
	s_addc_u32 s61, s63, 0
	s_mul_i32 s5, s59, s5
	s_add_u32 s5, s60, s5
	s_addc_u32 s60, 0, s61
	s_add_u32 s61, s4, s5
	s_cselect_b64 s[4:5], -1, 0
	s_cmp_lg_u64 s[4:5], 0
	s_addc_u32 s59, s59, s60
	s_mul_i32 s4, s55, s59
	s_mul_hi_u32 s5, s55, s61
	s_add_i32 s4, s5, s4
	s_mul_i32 s58, s58, s61
	s_add_i32 s4, s4, s58
	s_mul_i32 s55, s55, s61
	s_mul_hi_u32 s58, s59, s55
	s_mul_i32 s60, s59, s55
	s_mul_i32 s63, s61, s4
	s_mul_hi_u32 s55, s61, s55
	s_mul_hi_u32 s62, s61, s4
	s_add_u32 s55, s55, s63
	s_addc_u32 s62, 0, s62
	s_add_u32 s55, s55, s60
	s_mul_hi_u32 s5, s59, s4
	s_addc_u32 s55, s62, s58
	s_addc_u32 s5, s5, 0
	s_mul_i32 s4, s59, s4
	s_add_u32 s4, s55, s4
	s_addc_u32 s55, 0, s5
	s_add_u32 s58, s61, s4
	s_cselect_b64 s[4:5], -1, 0
	s_cmp_lg_u64 s[4:5], 0
	v_add_co_u32_e32 v3, vcc, v8, v5
	s_addc_u32 s55, s59, s55
	v_xor_b32_e32 v12, v3, v5
	v_addc_co_u32_e32 v8, vcc, v9, v5, vcc
	v_mad_u64_u32 v[3:4], s[4:5], v12, s55, 0
	v_mul_hi_u32 v9, v12, s58
	v_xor_b32_e32 v13, v8, v5
	v_xor_b32_e32 v5, s54, v5
	v_add_co_u32_e32 v14, vcc, v9, v3
	v_addc_co_u32_e32 v15, vcc, 0, v4, vcc
	v_mad_u64_u32 v[3:4], s[4:5], v13, s58, 0
	v_mad_u64_u32 v[8:9], s[4:5], v13, s55, 0
	v_add_co_u32_e32 v3, vcc, v14, v3
	v_addc_co_u32_e32 v3, vcc, v15, v4, vcc
	v_addc_co_u32_e32 v4, vcc, 0, v9, vcc
	v_add_co_u32_e32 v8, vcc, v3, v8
	v_addc_co_u32_e32 v9, vcc, 0, v4, vcc
	v_mul_lo_u32 v14, s57, v8
	v_mul_lo_u32 v15, s56, v9
	v_mad_u64_u32 v[3:4], s[4:5], s56, v8, 0
	v_add3_u32 v4, v4, v15, v14
	v_sub_u32_e32 v14, v13, v4
	v_mov_b32_e32 v15, s57
	v_sub_co_u32_e32 v3, vcc, v12, v3
	v_subb_co_u32_e64 v12, s[4:5], v14, v15, vcc
	v_subrev_co_u32_e64 v14, s[4:5], s56, v3
	v_subbrev_co_u32_e64 v12, s[4:5], 0, v12, s[4:5]
	v_cmp_le_u32_e64 s[4:5], s57, v12
	v_cndmask_b32_e64 v15, 0, -1, s[4:5]
	v_cmp_le_u32_e64 s[4:5], s56, v14
	v_cndmask_b32_e64 v14, 0, -1, s[4:5]
	v_cmp_eq_u32_e64 s[4:5], s57, v12
	v_cndmask_b32_e64 v12, v15, v14, s[4:5]
	v_add_co_u32_e64 v14, s[4:5], 2, v8
	v_subb_co_u32_e32 v4, vcc, v13, v4, vcc
	v_addc_co_u32_e64 v15, s[4:5], 0, v9, s[4:5]
	v_cmp_le_u32_e32 vcc, s57, v4
	v_add_co_u32_e64 v16, s[4:5], 1, v8
	v_cndmask_b32_e64 v13, 0, -1, vcc
	v_cmp_le_u32_e32 vcc, s56, v3
	v_addc_co_u32_e64 v17, s[4:5], 0, v9, s[4:5]
	v_cndmask_b32_e64 v3, 0, -1, vcc
	v_cmp_eq_u32_e32 vcc, s57, v4
	v_cmp_ne_u32_e64 s[4:5], 0, v12
	v_cndmask_b32_e32 v3, v13, v3, vcc
	v_cmp_ne_u32_e32 vcc, 0, v3
	v_cndmask_b32_e64 v4, v16, v14, s[4:5]
	v_cndmask_b32_e64 v12, v17, v15, s[4:5]
	v_cndmask_b32_e32 v4, v8, v4, vcc
	v_cndmask_b32_e32 v3, v9, v12, vcc
	v_xor_b32_e32 v4, v4, v5
	v_xor_b32_e32 v3, v3, v5
	v_sub_co_u32_e32 v4, vcc, v4, v5
	v_subb_co_u32_e32 v5, vcc, v3, v5, vcc
                                        ; implicit-def: $vgpr8
.LBB27_10:                              ;   in Loop: Header=BB27_3 Depth=1
	s_andn2_saveexec_b64 s[4:5], s[10:11]
	s_cbranch_execz .LBB27_12
; %bb.11:                               ;   in Loop: Header=BB27_3 Depth=1
	v_cvt_f32_u32_e32 v3, s68
	s_sub_i32 s10, 0, s68
	v_rcp_iflag_f32_e32 v3, v3
	v_mul_f32_e32 v3, 0x4f7ffffe, v3
	v_cvt_u32_f32_e32 v3, v3
	v_mul_lo_u32 v4, s10, v3
	v_mul_hi_u32 v4, v3, v4
	v_add_u32_e32 v3, v3, v4
	v_mul_hi_u32 v3, v8, v3
	v_mul_lo_u32 v4, v3, s68
	v_add_u32_e32 v5, 1, v3
	v_sub_u32_e32 v4, v8, v4
	v_subrev_u32_e32 v8, s68, v4
	v_cmp_le_u32_e32 vcc, s68, v4
	v_cndmask_b32_e32 v4, v4, v8, vcc
	v_cndmask_b32_e32 v3, v3, v5, vcc
	v_add_u32_e32 v5, 1, v3
	v_cmp_le_u32_e32 vcc, s68, v4
	v_cndmask_b32_e32 v4, v3, v5, vcc
	v_mov_b32_e32 v5, v2
.LBB27_12:                              ;   in Loop: Header=BB27_3 Depth=1
	s_or_b64 exec, exec, s[4:5]
	v_add_co_u32_e32 v4, vcc, 1, v4
	v_addc_co_u32_e32 v5, vcc, 0, v5, vcc
.LBB27_13:                              ;   in Loop: Header=BB27_3 Depth=1
	s_or_b64 exec, exec, s[6:7]
	v_or_b32_e32 v3, s67, v11
	v_cmp_ne_u64_e32 vcc, 0, v[2:3]
                                        ; implicit-def: $vgpr8_vgpr9
	s_and_saveexec_b64 s[4:5], vcc
	s_xor_b64 s[6:7], exec, s[4:5]
	s_cbranch_execz .LBB27_15
; %bb.14:                               ;   in Loop: Header=BB27_3 Depth=1
	s_ashr_i32 s10, s67, 31
	s_add_u32 s4, s68, s10
	s_mov_b32 s11, s10
	s_addc_u32 s5, s67, s10
	s_xor_b64 s[54:55], s[4:5], s[10:11]
	v_cvt_f32_u32_e32 v3, s54
	v_cvt_f32_u32_e32 v8, s55
	s_sub_u32 s11, 0, s54
	s_subb_u32 s56, 0, s55
	v_mac_f32_e32 v3, 0x4f800000, v8
	v_rcp_f32_e32 v3, v3
	v_mul_f32_e32 v3, 0x5f7ffffc, v3
	v_mul_f32_e32 v8, 0x2f800000, v3
	v_trunc_f32_e32 v8, v8
	v_mac_f32_e32 v3, 0xcf800000, v8
	v_cvt_u32_f32_e32 v8, v8
	v_cvt_u32_f32_e32 v3, v3
	v_readfirstlane_b32 s57, v8
	v_readfirstlane_b32 s4, v3
	s_mul_i32 s5, s11, s57
	s_mul_hi_u32 s59, s11, s4
	s_mul_i32 s58, s56, s4
	s_add_i32 s5, s59, s5
	s_add_i32 s5, s5, s58
	s_mul_i32 s60, s11, s4
	s_mul_i32 s59, s4, s5
	s_mul_hi_u32 s61, s4, s60
	s_mul_hi_u32 s58, s4, s5
	s_add_u32 s59, s61, s59
	s_addc_u32 s58, 0, s58
	s_mul_hi_u32 s62, s57, s60
	s_mul_i32 s60, s57, s60
	s_add_u32 s59, s59, s60
	s_mul_hi_u32 s61, s57, s5
	s_addc_u32 s58, s58, s62
	s_addc_u32 s59, s61, 0
	s_mul_i32 s5, s57, s5
	s_add_u32 s5, s58, s5
	s_addc_u32 s58, 0, s59
	s_add_u32 s59, s4, s5
	s_cselect_b64 s[4:5], -1, 0
	s_cmp_lg_u64 s[4:5], 0
	s_addc_u32 s57, s57, s58
	s_mul_i32 s4, s11, s57
	s_mul_hi_u32 s5, s11, s59
	s_add_i32 s4, s5, s4
	s_mul_i32 s56, s56, s59
	s_add_i32 s4, s4, s56
	s_mul_i32 s11, s11, s59
	s_mul_hi_u32 s56, s57, s11
	s_mul_i32 s58, s57, s11
	s_mul_i32 s61, s59, s4
	s_mul_hi_u32 s11, s59, s11
	s_mul_hi_u32 s60, s59, s4
	s_add_u32 s11, s11, s61
	s_addc_u32 s60, 0, s60
	s_add_u32 s11, s11, s58
	s_mul_hi_u32 s5, s57, s4
	s_addc_u32 s11, s60, s56
	s_addc_u32 s5, s5, 0
	s_mul_i32 s4, s57, s4
	s_add_u32 s4, s11, s4
	s_addc_u32 s11, 0, s5
	s_add_u32 s56, s59, s4
	s_cselect_b64 s[4:5], -1, 0
	v_ashrrev_i32_e32 v3, 31, v11
	s_cmp_lg_u64 s[4:5], 0
	v_add_co_u32_e32 v8, vcc, v10, v3
	s_addc_u32 s11, s57, s11
	v_xor_b32_e32 v12, v8, v3
	v_addc_co_u32_e32 v10, vcc, v11, v3, vcc
	v_mad_u64_u32 v[8:9], s[4:5], v12, s11, 0
	v_mul_hi_u32 v11, v12, s56
	v_xor_b32_e32 v13, v10, v3
	v_xor_b32_e32 v3, s10, v3
	v_add_co_u32_e32 v14, vcc, v11, v8
	v_addc_co_u32_e32 v15, vcc, 0, v9, vcc
	v_mad_u64_u32 v[8:9], s[4:5], v13, s56, 0
	v_mad_u64_u32 v[10:11], s[4:5], v13, s11, 0
	v_add_co_u32_e32 v8, vcc, v14, v8
	v_addc_co_u32_e32 v8, vcc, v15, v9, vcc
	v_addc_co_u32_e32 v9, vcc, 0, v11, vcc
	v_add_co_u32_e32 v10, vcc, v8, v10
	v_addc_co_u32_e32 v11, vcc, 0, v9, vcc
	v_mul_lo_u32 v14, s55, v10
	v_mul_lo_u32 v15, s54, v11
	v_mad_u64_u32 v[8:9], s[4:5], s54, v10, 0
	v_add3_u32 v9, v9, v15, v14
	v_sub_u32_e32 v14, v13, v9
	v_mov_b32_e32 v15, s55
	v_sub_co_u32_e32 v8, vcc, v12, v8
	v_subb_co_u32_e64 v12, s[4:5], v14, v15, vcc
	v_subrev_co_u32_e64 v14, s[4:5], s54, v8
	v_subbrev_co_u32_e64 v12, s[4:5], 0, v12, s[4:5]
	v_cmp_le_u32_e64 s[4:5], s55, v12
	v_cndmask_b32_e64 v15, 0, -1, s[4:5]
	v_cmp_le_u32_e64 s[4:5], s54, v14
	v_cndmask_b32_e64 v14, 0, -1, s[4:5]
	v_cmp_eq_u32_e64 s[4:5], s55, v12
	v_cndmask_b32_e64 v12, v15, v14, s[4:5]
	v_add_co_u32_e64 v14, s[4:5], 2, v10
	v_subb_co_u32_e32 v9, vcc, v13, v9, vcc
	v_addc_co_u32_e64 v15, s[4:5], 0, v11, s[4:5]
	v_cmp_le_u32_e32 vcc, s55, v9
	v_add_co_u32_e64 v16, s[4:5], 1, v10
	v_cndmask_b32_e64 v13, 0, -1, vcc
	v_cmp_le_u32_e32 vcc, s54, v8
	v_addc_co_u32_e64 v17, s[4:5], 0, v11, s[4:5]
	v_cndmask_b32_e64 v8, 0, -1, vcc
	v_cmp_eq_u32_e32 vcc, s55, v9
	v_cmp_ne_u32_e64 s[4:5], 0, v12
	v_cndmask_b32_e32 v8, v13, v8, vcc
	v_cndmask_b32_e64 v12, v17, v15, s[4:5]
	v_cmp_ne_u32_e32 vcc, 0, v8
	v_cndmask_b32_e64 v9, v16, v14, s[4:5]
	v_cndmask_b32_e32 v8, v11, v12, vcc
	v_cndmask_b32_e32 v9, v10, v9, vcc
	v_xor_b32_e32 v10, v8, v3
	v_xor_b32_e32 v8, v9, v3
	v_sub_co_u32_e32 v8, vcc, v8, v3
	v_subb_co_u32_e32 v9, vcc, v10, v3, vcc
                                        ; implicit-def: $vgpr10
.LBB27_15:                              ;   in Loop: Header=BB27_3 Depth=1
	s_andn2_saveexec_b64 s[4:5], s[6:7]
	s_cbranch_execz .LBB27_17
; %bb.16:                               ;   in Loop: Header=BB27_3 Depth=1
	v_cvt_f32_u32_e32 v3, s68
	s_sub_i32 s6, 0, s68
	v_rcp_iflag_f32_e32 v3, v3
	v_mul_f32_e32 v3, 0x4f7ffffe, v3
	v_cvt_u32_f32_e32 v3, v3
	v_mul_lo_u32 v8, s6, v3
	v_mul_hi_u32 v8, v3, v8
	v_add_u32_e32 v3, v3, v8
	v_mul_hi_u32 v3, v10, v3
	v_mul_lo_u32 v8, v3, s68
	v_add_u32_e32 v9, 1, v3
	v_sub_u32_e32 v8, v10, v8
	v_subrev_u32_e32 v10, s68, v8
	v_cmp_le_u32_e32 vcc, s68, v8
	v_cndmask_b32_e32 v8, v8, v10, vcc
	v_cndmask_b32_e32 v3, v3, v9, vcc
	v_add_u32_e32 v9, 1, v3
	v_cmp_le_u32_e32 vcc, s68, v8
	v_cndmask_b32_e32 v8, v3, v9, vcc
	v_mov_b32_e32 v9, v2
.LBB27_17:                              ;   in Loop: Header=BB27_3 Depth=1
	s_or_b64 exec, exec, s[4:5]
	v_mul_lo_u32 v3, v7, s22
	v_mul_lo_u32 v10, v6, s23
	v_mad_u64_u32 v[6:7], s[4:5], v6, s22, 0
	v_add3_u32 v3, v7, v10, v3
	v_sub_co_u32_e32 v6, vcc, v0, v6
	v_subb_co_u32_e32 v3, vcc, v1, v3, vcc
	v_mov_b32_e32 v7, s69
	v_add_co_u32_e32 v10, vcc, s70, v6
	v_addc_co_u32_e32 v11, vcc, v3, v7, vcc
	v_cmp_le_i64_e32 vcc, s[38:39], v[10:11]
	v_mov_b32_e32 v6, 0
	v_mov_b32_e32 v7, 0
	s_and_saveexec_b64 s[6:7], vcc
	s_cbranch_execz .LBB27_23
; %bb.18:                               ;   in Loop: Header=BB27_3 Depth=1
	v_mov_b32_e32 v3, s39
	v_subrev_co_u32_e32 v12, vcc, s38, v10
	v_subb_co_u32_e32 v13, vcc, v11, v3, vcc
	v_or_b32_e32 v3, s71, v13
	v_cmp_ne_u64_e32 vcc, 0, v[2:3]
                                        ; implicit-def: $vgpr6_vgpr7
	s_and_saveexec_b64 s[4:5], vcc
	s_xor_b64 s[10:11], exec, s[4:5]
	s_cbranch_execz .LBB27_20
; %bb.19:                               ;   in Loop: Header=BB27_3 Depth=1
	s_ashr_i32 s54, s71, 31
	s_add_u32 s4, s72, s54
	s_mov_b32 s55, s54
	s_addc_u32 s5, s71, s54
	s_xor_b64 s[56:57], s[4:5], s[54:55]
	v_cvt_f32_u32_e32 v3, s56
	v_cvt_f32_u32_e32 v6, s57
	s_sub_u32 s55, 0, s56
	s_subb_u32 s58, 0, s57
	v_mac_f32_e32 v3, 0x4f800000, v6
	v_rcp_f32_e32 v3, v3
	v_mul_f32_e32 v3, 0x5f7ffffc, v3
	v_mul_f32_e32 v6, 0x2f800000, v3
	v_trunc_f32_e32 v6, v6
	v_mac_f32_e32 v3, 0xcf800000, v6
	v_cvt_u32_f32_e32 v6, v6
	v_cvt_u32_f32_e32 v3, v3
	v_readfirstlane_b32 s59, v6
	v_readfirstlane_b32 s4, v3
	s_mul_i32 s5, s55, s59
	s_mul_hi_u32 s61, s55, s4
	s_mul_i32 s60, s58, s4
	s_add_i32 s5, s61, s5
	s_add_i32 s5, s5, s60
	s_mul_i32 s62, s55, s4
	s_mul_i32 s61, s4, s5
	s_mul_hi_u32 s63, s4, s62
	s_mul_hi_u32 s60, s4, s5
	s_add_u32 s61, s63, s61
	s_addc_u32 s60, 0, s60
	s_mul_hi_u32 s64, s59, s62
	s_mul_i32 s62, s59, s62
	s_add_u32 s61, s61, s62
	s_mul_hi_u32 s63, s59, s5
	s_addc_u32 s60, s60, s64
	s_addc_u32 s61, s63, 0
	s_mul_i32 s5, s59, s5
	s_add_u32 s5, s60, s5
	s_addc_u32 s60, 0, s61
	s_add_u32 s61, s4, s5
	s_cselect_b64 s[4:5], -1, 0
	s_cmp_lg_u64 s[4:5], 0
	s_addc_u32 s59, s59, s60
	s_mul_i32 s4, s55, s59
	s_mul_hi_u32 s5, s55, s61
	s_add_i32 s4, s5, s4
	s_mul_i32 s58, s58, s61
	s_add_i32 s4, s4, s58
	s_mul_i32 s55, s55, s61
	s_mul_hi_u32 s58, s59, s55
	s_mul_i32 s60, s59, s55
	s_mul_i32 s63, s61, s4
	s_mul_hi_u32 s55, s61, s55
	s_mul_hi_u32 s62, s61, s4
	s_add_u32 s55, s55, s63
	s_addc_u32 s62, 0, s62
	s_add_u32 s55, s55, s60
	s_mul_hi_u32 s5, s59, s4
	s_addc_u32 s55, s62, s58
	s_addc_u32 s5, s5, 0
	s_mul_i32 s4, s59, s4
	s_add_u32 s4, s55, s4
	s_addc_u32 s55, 0, s5
	s_add_u32 s58, s61, s4
	s_cselect_b64 s[4:5], -1, 0
	v_ashrrev_i32_e32 v3, 31, v13
	s_cmp_lg_u64 s[4:5], 0
	v_add_co_u32_e32 v6, vcc, v12, v3
	s_addc_u32 s55, s59, s55
	v_xor_b32_e32 v14, v6, v3
	v_addc_co_u32_e32 v12, vcc, v13, v3, vcc
	v_mad_u64_u32 v[6:7], s[4:5], v14, s55, 0
	v_mul_hi_u32 v13, v14, s58
	v_xor_b32_e32 v15, v12, v3
	v_xor_b32_e32 v3, s54, v3
	v_add_co_u32_e32 v16, vcc, v13, v6
	v_addc_co_u32_e32 v17, vcc, 0, v7, vcc
	v_mad_u64_u32 v[6:7], s[4:5], v15, s58, 0
	v_mad_u64_u32 v[12:13], s[4:5], v15, s55, 0
	v_add_co_u32_e32 v6, vcc, v16, v6
	v_addc_co_u32_e32 v6, vcc, v17, v7, vcc
	v_addc_co_u32_e32 v7, vcc, 0, v13, vcc
	v_add_co_u32_e32 v12, vcc, v6, v12
	v_addc_co_u32_e32 v13, vcc, 0, v7, vcc
	v_mul_lo_u32 v16, s57, v12
	v_mul_lo_u32 v17, s56, v13
	v_mad_u64_u32 v[6:7], s[4:5], s56, v12, 0
	v_add3_u32 v7, v7, v17, v16
	v_sub_u32_e32 v16, v15, v7
	v_mov_b32_e32 v17, s57
	v_sub_co_u32_e32 v6, vcc, v14, v6
	v_subb_co_u32_e64 v14, s[4:5], v16, v17, vcc
	v_subrev_co_u32_e64 v16, s[4:5], s56, v6
	v_subbrev_co_u32_e64 v14, s[4:5], 0, v14, s[4:5]
	v_cmp_le_u32_e64 s[4:5], s57, v14
	v_cndmask_b32_e64 v17, 0, -1, s[4:5]
	v_cmp_le_u32_e64 s[4:5], s56, v16
	v_cndmask_b32_e64 v16, 0, -1, s[4:5]
	v_cmp_eq_u32_e64 s[4:5], s57, v14
	v_cndmask_b32_e64 v14, v17, v16, s[4:5]
	v_add_co_u32_e64 v16, s[4:5], 2, v12
	v_subb_co_u32_e32 v7, vcc, v15, v7, vcc
	v_addc_co_u32_e64 v17, s[4:5], 0, v13, s[4:5]
	v_cmp_le_u32_e32 vcc, s57, v7
	v_add_co_u32_e64 v18, s[4:5], 1, v12
	v_cndmask_b32_e64 v15, 0, -1, vcc
	v_cmp_le_u32_e32 vcc, s56, v6
	v_addc_co_u32_e64 v19, s[4:5], 0, v13, s[4:5]
	v_cndmask_b32_e64 v6, 0, -1, vcc
	v_cmp_eq_u32_e32 vcc, s57, v7
	v_cmp_ne_u32_e64 s[4:5], 0, v14
	v_cndmask_b32_e32 v6, v15, v6, vcc
	v_cndmask_b32_e64 v14, v19, v17, s[4:5]
	v_cmp_ne_u32_e32 vcc, 0, v6
	v_cndmask_b32_e64 v7, v18, v16, s[4:5]
	v_cndmask_b32_e32 v6, v13, v14, vcc
	v_cndmask_b32_e32 v7, v12, v7, vcc
	v_xor_b32_e32 v12, v6, v3
	v_xor_b32_e32 v6, v7, v3
	v_sub_co_u32_e32 v6, vcc, v6, v3
	v_subb_co_u32_e32 v7, vcc, v12, v3, vcc
                                        ; implicit-def: $vgpr12
.LBB27_20:                              ;   in Loop: Header=BB27_3 Depth=1
	s_andn2_saveexec_b64 s[4:5], s[10:11]
	s_cbranch_execz .LBB27_22
; %bb.21:                               ;   in Loop: Header=BB27_3 Depth=1
	v_cvt_f32_u32_e32 v3, s72
	s_sub_i32 s10, 0, s72
	v_rcp_iflag_f32_e32 v3, v3
	v_mul_f32_e32 v3, 0x4f7ffffe, v3
	v_cvt_u32_f32_e32 v3, v3
	v_mul_lo_u32 v6, s10, v3
	v_mul_hi_u32 v6, v3, v6
	v_add_u32_e32 v3, v3, v6
	v_mul_hi_u32 v3, v12, v3
	v_mul_lo_u32 v6, v3, s72
	v_add_u32_e32 v7, 1, v3
	v_sub_u32_e32 v6, v12, v6
	v_subrev_u32_e32 v12, s72, v6
	v_cmp_le_u32_e32 vcc, s72, v6
	v_cndmask_b32_e32 v6, v6, v12, vcc
	v_cndmask_b32_e32 v3, v3, v7, vcc
	v_add_u32_e32 v7, 1, v3
	v_cmp_le_u32_e32 vcc, s72, v6
	v_cndmask_b32_e32 v6, v3, v7, vcc
	v_mov_b32_e32 v7, v2
.LBB27_22:                              ;   in Loop: Header=BB27_3 Depth=1
	s_or_b64 exec, exec, s[4:5]
	v_add_co_u32_e32 v6, vcc, 1, v6
	v_addc_co_u32_e32 v7, vcc, 0, v7, vcc
.LBB27_23:                              ;   in Loop: Header=BB27_3 Depth=1
	s_or_b64 exec, exec, s[6:7]
	v_or_b32_e32 v3, s71, v11
	v_cmp_ne_u64_e32 vcc, 0, v[2:3]
                                        ; implicit-def: $vgpr12_vgpr13
	s_and_saveexec_b64 s[4:5], vcc
	s_xor_b64 s[6:7], exec, s[4:5]
	s_cbranch_execnz .LBB27_26
; %bb.24:                               ;   in Loop: Header=BB27_3 Depth=1
	s_andn2_saveexec_b64 s[4:5], s[6:7]
	s_cbranch_execnz .LBB27_27
.LBB27_25:                              ;   in Loop: Header=BB27_3 Depth=1
	s_or_b64 exec, exec, s[4:5]
	s_andn2_b64 vcc, exec, s[0:1]
	s_cbranch_vccnz .LBB27_2
	s_branch .LBB27_28
.LBB27_26:                              ;   in Loop: Header=BB27_3 Depth=1
	s_ashr_i32 s10, s71, 31
	s_add_u32 s4, s72, s10
	s_mov_b32 s11, s10
	s_addc_u32 s5, s71, s10
	s_xor_b64 s[54:55], s[4:5], s[10:11]
	v_cvt_f32_u32_e32 v3, s54
	v_cvt_f32_u32_e32 v12, s55
	s_sub_u32 s11, 0, s54
	s_subb_u32 s56, 0, s55
	v_mac_f32_e32 v3, 0x4f800000, v12
	v_rcp_f32_e32 v3, v3
	v_mul_f32_e32 v3, 0x5f7ffffc, v3
	v_mul_f32_e32 v12, 0x2f800000, v3
	v_trunc_f32_e32 v12, v12
	v_mac_f32_e32 v3, 0xcf800000, v12
	v_cvt_u32_f32_e32 v12, v12
	v_cvt_u32_f32_e32 v3, v3
	v_readfirstlane_b32 s57, v12
	v_readfirstlane_b32 s4, v3
	s_mul_i32 s5, s11, s57
	s_mul_hi_u32 s59, s11, s4
	s_mul_i32 s58, s56, s4
	s_add_i32 s5, s59, s5
	s_add_i32 s5, s5, s58
	s_mul_i32 s60, s11, s4
	s_mul_i32 s59, s4, s5
	s_mul_hi_u32 s61, s4, s60
	s_mul_hi_u32 s58, s4, s5
	s_add_u32 s59, s61, s59
	s_addc_u32 s58, 0, s58
	s_mul_hi_u32 s62, s57, s60
	s_mul_i32 s60, s57, s60
	s_add_u32 s59, s59, s60
	s_mul_hi_u32 s61, s57, s5
	s_addc_u32 s58, s58, s62
	s_addc_u32 s59, s61, 0
	s_mul_i32 s5, s57, s5
	s_add_u32 s5, s58, s5
	s_addc_u32 s58, 0, s59
	s_add_u32 s59, s4, s5
	s_cselect_b64 s[4:5], -1, 0
	s_cmp_lg_u64 s[4:5], 0
	s_addc_u32 s57, s57, s58
	s_mul_i32 s4, s11, s57
	s_mul_hi_u32 s5, s11, s59
	s_add_i32 s4, s5, s4
	s_mul_i32 s56, s56, s59
	s_add_i32 s4, s4, s56
	s_mul_i32 s11, s11, s59
	s_mul_hi_u32 s56, s57, s11
	s_mul_i32 s58, s57, s11
	s_mul_i32 s61, s59, s4
	s_mul_hi_u32 s11, s59, s11
	s_mul_hi_u32 s60, s59, s4
	s_add_u32 s11, s11, s61
	s_addc_u32 s60, 0, s60
	s_add_u32 s11, s11, s58
	s_mul_hi_u32 s5, s57, s4
	s_addc_u32 s11, s60, s56
	s_addc_u32 s5, s5, 0
	s_mul_i32 s4, s57, s4
	s_add_u32 s4, s11, s4
	s_addc_u32 s11, 0, s5
	s_add_u32 s56, s59, s4
	s_cselect_b64 s[4:5], -1, 0
	v_ashrrev_i32_e32 v3, 31, v11
	s_cmp_lg_u64 s[4:5], 0
	v_add_co_u32_e32 v10, vcc, v10, v3
	s_addc_u32 s11, s57, s11
	v_xor_b32_e32 v14, v10, v3
	v_addc_co_u32_e32 v12, vcc, v11, v3, vcc
	v_mad_u64_u32 v[10:11], s[4:5], v14, s11, 0
	v_mul_hi_u32 v13, v14, s56
	v_xor_b32_e32 v15, v12, v3
	v_xor_b32_e32 v3, s10, v3
	v_add_co_u32_e32 v16, vcc, v13, v10
	v_addc_co_u32_e32 v17, vcc, 0, v11, vcc
	v_mad_u64_u32 v[10:11], s[4:5], v15, s56, 0
	v_mad_u64_u32 v[12:13], s[4:5], v15, s11, 0
	v_add_co_u32_e32 v10, vcc, v16, v10
	v_addc_co_u32_e32 v10, vcc, v17, v11, vcc
	v_addc_co_u32_e32 v11, vcc, 0, v13, vcc
	v_add_co_u32_e32 v12, vcc, v10, v12
	v_addc_co_u32_e32 v13, vcc, 0, v11, vcc
	v_mul_lo_u32 v16, s55, v12
	v_mul_lo_u32 v17, s54, v13
	v_mad_u64_u32 v[10:11], s[4:5], s54, v12, 0
	v_add3_u32 v11, v11, v17, v16
	v_sub_u32_e32 v16, v15, v11
	v_mov_b32_e32 v17, s55
	v_sub_co_u32_e32 v10, vcc, v14, v10
	v_subb_co_u32_e64 v14, s[4:5], v16, v17, vcc
	v_subrev_co_u32_e64 v16, s[4:5], s54, v10
	v_subbrev_co_u32_e64 v14, s[4:5], 0, v14, s[4:5]
	v_cmp_le_u32_e64 s[4:5], s55, v14
	v_cndmask_b32_e64 v17, 0, -1, s[4:5]
	v_cmp_le_u32_e64 s[4:5], s54, v16
	v_cndmask_b32_e64 v16, 0, -1, s[4:5]
	v_cmp_eq_u32_e64 s[4:5], s55, v14
	v_cndmask_b32_e64 v14, v17, v16, s[4:5]
	v_add_co_u32_e64 v16, s[4:5], 2, v12
	v_subb_co_u32_e32 v11, vcc, v15, v11, vcc
	v_addc_co_u32_e64 v17, s[4:5], 0, v13, s[4:5]
	v_cmp_le_u32_e32 vcc, s55, v11
	v_add_co_u32_e64 v18, s[4:5], 1, v12
	v_cndmask_b32_e64 v15, 0, -1, vcc
	v_cmp_le_u32_e32 vcc, s54, v10
	v_addc_co_u32_e64 v19, s[4:5], 0, v13, s[4:5]
	v_cndmask_b32_e64 v10, 0, -1, vcc
	v_cmp_eq_u32_e32 vcc, s55, v11
	v_cmp_ne_u32_e64 s[4:5], 0, v14
	v_cndmask_b32_e32 v10, v15, v10, vcc
	v_cmp_ne_u32_e32 vcc, 0, v10
	v_cndmask_b32_e64 v11, v18, v16, s[4:5]
	v_cndmask_b32_e64 v14, v19, v17, s[4:5]
	v_cndmask_b32_e32 v11, v12, v11, vcc
	v_cndmask_b32_e32 v10, v13, v14, vcc
	v_xor_b32_e32 v11, v11, v3
	v_xor_b32_e32 v10, v10, v3
	v_sub_co_u32_e32 v12, vcc, v11, v3
	v_subb_co_u32_e32 v13, vcc, v10, v3, vcc
                                        ; implicit-def: $vgpr10
	s_andn2_saveexec_b64 s[4:5], s[6:7]
	s_cbranch_execz .LBB27_25
.LBB27_27:                              ;   in Loop: Header=BB27_3 Depth=1
	v_cvt_f32_u32_e32 v3, s72
	s_sub_i32 s6, 0, s72
	v_mov_b32_e32 v13, v2
	v_rcp_iflag_f32_e32 v3, v3
	v_mul_f32_e32 v3, 0x4f7ffffe, v3
	v_cvt_u32_f32_e32 v3, v3
	v_mul_lo_u32 v11, s6, v3
	v_mul_hi_u32 v11, v3, v11
	v_add_u32_e32 v3, v3, v11
	v_mul_hi_u32 v3, v10, v3
	v_mul_lo_u32 v11, v3, s72
	v_add_u32_e32 v12, 1, v3
	v_sub_u32_e32 v10, v10, v11
	v_subrev_u32_e32 v11, s72, v10
	v_cmp_le_u32_e32 vcc, s72, v10
	v_cndmask_b32_e32 v10, v10, v11, vcc
	v_cndmask_b32_e32 v3, v3, v12, vcc
	v_add_u32_e32 v11, 1, v3
	v_cmp_le_u32_e32 vcc, s72, v10
	v_cndmask_b32_e32 v12, v3, v11, vcc
	s_or_b64 exec, exec, s[4:5]
	s_andn2_b64 vcc, exec, s[0:1]
	s_cbranch_vccnz .LBB27_2
.LBB27_28:                              ;   in Loop: Header=BB27_3 Depth=1
	v_add_co_u32_e32 v10, vcc, 1, v12
	v_addc_co_u32_e32 v11, vcc, 0, v13, vcc
	v_cmp_gt_i64_e32 vcc, s[26:27], v[10:11]
	v_mov_b32_e32 v3, s27
	v_cndmask_b32_e32 v11, v3, v11, vcc
	v_mov_b32_e32 v3, s26
	v_cndmask_b32_e32 v10, v3, v10, vcc
	v_add_co_u32_e32 v8, vcc, 1, v8
	v_addc_co_u32_e32 v9, vcc, 0, v9, vcc
	v_cmp_gt_i64_e32 vcc, s[24:25], v[8:9]
	v_mov_b32_e32 v3, s25
	v_lshlrev_b64 v[12:13], 1, v[0:1]
	v_cndmask_b32_e32 v9, v3, v9, vcc
	v_mov_b32_e32 v3, s24
	v_cndmask_b32_e32 v8, v3, v8, vcc
	v_mov_b32_e32 v14, s35
	v_add_co_u32_e32 v3, vcc, s34, v12
	v_addc_co_u32_e32 v32, vcc, v14, v13, vcc
	v_mov_b32_e32 v12, s74
	v_add_co_u32_e32 v13, vcc, s75, v4
	v_addc_co_u32_e32 v12, vcc, v12, v5, vcc
	v_mul_lo_u32 v12, s26, v12
	v_mul_lo_u32 v16, s27, v13
	v_mad_u64_u32 v[14:15], s[4:5], s26, v13, v[6:7]
	s_load_dword s77, s[30:31], 0x4
	v_cmp_lt_i64_e64 s[4:5], v[4:5], v[8:9]
	v_add3_u32 v15, v16, v15, v12
	v_lshlrev_b64 v[12:13], 3, v[14:15]
	v_mov_b32_e32 v16, s15
	v_add_co_u32_e32 v12, vcc, s14, v12
	v_lshlrev_b64 v[14:15], 1, v[14:15]
	v_addc_co_u32_e32 v13, vcc, v16, v13, vcc
	s_waitcnt lgkmcnt(0)
	s_mul_i32 s10, s41, s77
	s_mul_hi_u32 s11, s40, s77
	v_cmp_lt_i64_e64 s[6:7], v[6:7], v[10:11]
	s_add_i32 s78, s11, s10
	v_mov_b32_e32 v16, s13
	v_add_co_u32_e32 v14, vcc, s12, v14
	s_mul_i32 s10, s47, s77
	s_mul_hi_u32 s11, s46, s77
	s_mul_i32 s79, s40, s77
	v_addc_co_u32_e32 v15, vcc, v16, v15, vcc
	s_add_i32 s80, s11, s10
	s_mul_i32 s81, s46, s77
	s_mov_b64 s[54:55], s[28:29]
	s_branch .LBB27_30
.LBB27_29:                              ;   in Loop: Header=BB27_30 Depth=2
	v_mov_b32_e32 v16, s78
	v_add_co_u32_e32 v12, vcc, s79, v12
	s_add_u32 s54, s54, s77
	v_addc_co_u32_e32 v13, vcc, v13, v16, vcc
	v_mov_b32_e32 v16, s16
	s_addc_u32 s55, s55, 0
	v_mov_b32_e32 v17, s17
	v_cmp_ge_i64_e32 vcc, s[54:55], v[16:17]
	v_mov_b32_e32 v18, s80
	v_add_co_u32_e64 v14, s[10:11], s81, v14
	v_addc_co_u32_e64 v15, s[10:11], v15, v18, s[10:11]
	s_cbranch_vccnz .LBB27_2
.LBB27_30:                              ;   Parent Loop BB27_3 Depth=1
                                        ; =>  This Loop Header: Depth=2
                                        ;       Child Loop BB27_34 Depth 3
                                        ;         Child Loop BB27_38 Depth 4
                                        ;           Child Loop BB27_41 Depth 5
	s_andn2_b64 vcc, exec, s[2:3]
	s_cbranch_vccnz .LBB27_29
; %bb.31:                               ;   in Loop: Header=BB27_30 Depth=2
	s_load_dword s82, s[30:31], 0x8
	s_mul_i32 s10, s54, s19
	s_mul_hi_u32 s11, s54, s18
	s_add_i32 s10, s11, s10
	s_mul_i32 s11, s55, s18
	s_add_i32 s83, s10, s11
	s_waitcnt lgkmcnt(0)
	s_mul_i32 s10, s43, s82
	s_mul_hi_u32 s11, s42, s82
	s_add_i32 s85, s11, s10
	s_mul_i32 s10, s49, s82
	s_mul_hi_u32 s11, s48, s82
	v_mov_b32_e32 v17, v15
	v_mov_b32_e32 v19, v13
	s_mul_i32 s84, s54, s18
	s_mul_i32 s86, s42, s82
	s_add_i32 s87, s11, s10
	s_mul_i32 s88, s48, s82
	v_mov_b32_e32 v16, v14
	v_mov_b32_e32 v18, v12
	s_mov_b64 s[56:57], s[8:9]
	s_branch .LBB27_34
.LBB27_32:                              ;   in Loop: Header=BB27_34 Depth=3
	s_or_b64 exec, exec, s[60:61]
.LBB27_33:                              ;   in Loop: Header=BB27_34 Depth=3
	s_or_b64 exec, exec, s[58:59]
	s_add_u32 s10, s56, s84
	s_addc_u32 s11, s57, s83
	s_mul_i32 s11, s20, s11
	s_mul_hi_u32 s58, s20, s10
	s_add_i32 s11, s58, s11
	s_mul_i32 s58, s21, s10
	v_bfe_u32 v20, v33, 16, 1
	s_add_i32 s11, s11, s58
	s_mul_i32 s10, s20, s10
	v_add3_u32 v20, v33, v20, s76
	v_cmp_o_f32_e32 vcc, v33, v33
	v_mov_b32_e32 v21, 0x7fc0
	s_lshl_b64 s[10:11], s[10:11], 1
	v_cndmask_b32_sdwa v22, v21, v20, vcc dst_sel:DWORD dst_unused:UNUSED_PAD src0_sel:DWORD src1_sel:WORD_1
	v_mov_b32_e32 v21, s11
	v_add_co_u32_e32 v20, vcc, s10, v3
	v_addc_co_u32_e32 v21, vcc, v32, v21, vcc
	global_store_short v[20:21], v22, off
	v_mov_b32_e32 v20, s85
	v_add_co_u32_e32 v18, vcc, s86, v18
	s_add_u32 s56, s56, s82
	v_addc_co_u32_e32 v19, vcc, v19, v20, vcc
	v_mov_b32_e32 v21, s19
	s_addc_u32 s57, s57, 0
	v_mov_b32_e32 v20, s18
	v_cmp_ge_i64_e32 vcc, s[56:57], v[20:21]
	v_mov_b32_e32 v22, s87
	v_add_co_u32_e64 v16, s[10:11], s88, v16
	v_addc_co_u32_e64 v17, s[10:11], v17, v22, s[10:11]
	s_cbranch_vccnz .LBB27_29
.LBB27_34:                              ;   Parent Loop BB27_3 Depth=1
                                        ;     Parent Loop BB27_30 Depth=2
                                        ; =>    This Loop Header: Depth=3
                                        ;         Child Loop BB27_38 Depth 4
                                        ;           Child Loop BB27_41 Depth 5
	v_mov_b32_e32 v33, 0
	s_and_saveexec_b64 s[58:59], s[4:5]
	s_cbranch_execz .LBB27_33
; %bb.35:                               ;   in Loop: Header=BB27_34 Depth=3
	v_mov_b32_e32 v21, v17
	v_mov_b32_e32 v23, v19
	;; [unrolled: 1-line block ×4, first 2 shown]
	s_mov_b64 s[60:61], 0
	v_mov_b32_e32 v20, v16
	v_mov_b32_e32 v22, v18
	;; [unrolled: 1-line block ×3, first 2 shown]
	s_branch .LBB27_38
.LBB27_36:                              ;   in Loop: Header=BB27_38 Depth=4
	s_or_b64 exec, exec, s[64:65]
.LBB27_37:                              ;   in Loop: Header=BB27_38 Depth=4
	s_or_b64 exec, exec, s[62:63]
	v_add_co_u32_e32 v24, vcc, 1, v24
	v_addc_co_u32_e32 v25, vcc, 0, v25, vcc
	v_mov_b32_e32 v26, s45
	v_add_co_u32_e32 v22, vcc, s44, v22
	v_addc_co_u32_e32 v23, vcc, v23, v26, vcc
	v_cmp_ge_i64_e32 vcc, v[24:25], v[8:9]
	v_mov_b32_e32 v26, s51
	s_or_b64 s[60:61], vcc, s[60:61]
	v_add_co_u32_e32 v20, vcc, s50, v20
	v_addc_co_u32_e32 v21, vcc, v21, v26, vcc
	s_andn2_b64 exec, exec, s[60:61]
	s_cbranch_execz .LBB27_32
.LBB27_38:                              ;   Parent Loop BB27_3 Depth=1
                                        ;     Parent Loop BB27_30 Depth=2
                                        ;       Parent Loop BB27_34 Depth=3
                                        ; =>      This Loop Header: Depth=4
                                        ;           Child Loop BB27_41 Depth 5
	s_and_saveexec_b64 s[62:63], s[6:7]
	s_cbranch_execz .LBB27_37
; %bb.39:                               ;   in Loop: Header=BB27_38 Depth=4
	v_mov_b32_e32 v27, v21
	v_mov_b32_e32 v29, v23
	v_mov_b32_e32 v31, v7
	s_mov_b64 s[64:65], 0
	v_mov_b32_e32 v26, v20
	v_mov_b32_e32 v28, v22
	v_mov_b32_e32 v30, v6
	s_branch .LBB27_41
.LBB27_40:                              ;   in Loop: Header=BB27_41 Depth=5
	s_or_b64 exec, exec, s[10:11]
	v_add_co_u32_e32 v30, vcc, 1, v30
	v_addc_co_u32_e32 v31, vcc, 0, v31, vcc
	v_cmp_ge_i64_e32 vcc, v[30:31], v[10:11]
	v_add_co_u32_e64 v28, s[10:11], 8, v28
	s_or_b64 s[64:65], vcc, s[64:65]
	v_add_co_u32_e32 v26, vcc, 2, v26
	v_addc_co_u32_e64 v29, s[10:11], 0, v29, s[10:11]
	v_addc_co_u32_e32 v27, vcc, 0, v27, vcc
	s_andn2_b64 exec, exec, s[64:65]
	s_cbranch_execz .LBB27_36
.LBB27_41:                              ;   Parent Loop BB27_3 Depth=1
                                        ;     Parent Loop BB27_30 Depth=2
                                        ;       Parent Loop BB27_34 Depth=3
                                        ;         Parent Loop BB27_38 Depth=4
                                        ; =>        This Inner Loop Header: Depth=5
	global_load_dwordx2 v[34:35], v[28:29], off
	s_waitcnt vmcnt(0)
	v_cmp_eq_u64_e32 vcc, v[34:35], v[0:1]
	s_and_saveexec_b64 s[10:11], vcc
	s_cbranch_execz .LBB27_40
; %bb.42:                               ;   in Loop: Header=BB27_41 Depth=5
	global_load_ushort v34, v[26:27], off
	s_waitcnt vmcnt(0)
	v_lshlrev_b32_e32 v34, 16, v34
	v_add_f32_e32 v33, v33, v34
	s_branch .LBB27_40
.LBB27_43:
	s_endpgm
	.section	.rodata,"a",@progbits
	.p2align	6, 0x0
	.amdhsa_kernel _ZN2at6native12_GLOBAL__N_122max_pool_backward_nchwIN3c108BFloat16EflEEvPKT_PKlT1_SA_SA_SA_SA_SA_iiiiiiiiPS5_
		.amdhsa_group_segment_fixed_size 0
		.amdhsa_private_segment_fixed_size 0
		.amdhsa_kernarg_size 360
		.amdhsa_user_sgpr_count 6
		.amdhsa_user_sgpr_private_segment_buffer 1
		.amdhsa_user_sgpr_dispatch_ptr 0
		.amdhsa_user_sgpr_queue_ptr 0
		.amdhsa_user_sgpr_kernarg_segment_ptr 1
		.amdhsa_user_sgpr_dispatch_id 0
		.amdhsa_user_sgpr_flat_scratch_init 0
		.amdhsa_user_sgpr_private_segment_size 0
		.amdhsa_uses_dynamic_stack 0
		.amdhsa_system_sgpr_private_segment_wavefront_offset 0
		.amdhsa_system_sgpr_workgroup_id_x 1
		.amdhsa_system_sgpr_workgroup_id_y 1
		.amdhsa_system_sgpr_workgroup_id_z 1
		.amdhsa_system_sgpr_workgroup_info 0
		.amdhsa_system_vgpr_workitem_id 0
		.amdhsa_next_free_vgpr 36
		.amdhsa_next_free_sgpr 89
		.amdhsa_reserve_vcc 1
		.amdhsa_reserve_flat_scratch 0
		.amdhsa_float_round_mode_32 0
		.amdhsa_float_round_mode_16_64 0
		.amdhsa_float_denorm_mode_32 3
		.amdhsa_float_denorm_mode_16_64 3
		.amdhsa_dx10_clamp 1
		.amdhsa_ieee_mode 1
		.amdhsa_fp16_overflow 0
		.amdhsa_exception_fp_ieee_invalid_op 0
		.amdhsa_exception_fp_denorm_src 0
		.amdhsa_exception_fp_ieee_div_zero 0
		.amdhsa_exception_fp_ieee_overflow 0
		.amdhsa_exception_fp_ieee_underflow 0
		.amdhsa_exception_fp_ieee_inexact 0
		.amdhsa_exception_int_div_zero 0
	.end_amdhsa_kernel
	.section	.text._ZN2at6native12_GLOBAL__N_122max_pool_backward_nchwIN3c108BFloat16EflEEvPKT_PKlT1_SA_SA_SA_SA_SA_iiiiiiiiPS5_,"axG",@progbits,_ZN2at6native12_GLOBAL__N_122max_pool_backward_nchwIN3c108BFloat16EflEEvPKT_PKlT1_SA_SA_SA_SA_SA_iiiiiiiiPS5_,comdat
.Lfunc_end27:
	.size	_ZN2at6native12_GLOBAL__N_122max_pool_backward_nchwIN3c108BFloat16EflEEvPKT_PKlT1_SA_SA_SA_SA_SA_iiiiiiiiPS5_, .Lfunc_end27-_ZN2at6native12_GLOBAL__N_122max_pool_backward_nchwIN3c108BFloat16EflEEvPKT_PKlT1_SA_SA_SA_SA_SA_iiiiiiiiPS5_
                                        ; -- End function
	.set _ZN2at6native12_GLOBAL__N_122max_pool_backward_nchwIN3c108BFloat16EflEEvPKT_PKlT1_SA_SA_SA_SA_SA_iiiiiiiiPS5_.num_vgpr, 36
	.set _ZN2at6native12_GLOBAL__N_122max_pool_backward_nchwIN3c108BFloat16EflEEvPKT_PKlT1_SA_SA_SA_SA_SA_iiiiiiiiPS5_.num_agpr, 0
	.set _ZN2at6native12_GLOBAL__N_122max_pool_backward_nchwIN3c108BFloat16EflEEvPKT_PKlT1_SA_SA_SA_SA_SA_iiiiiiiiPS5_.numbered_sgpr, 89
	.set _ZN2at6native12_GLOBAL__N_122max_pool_backward_nchwIN3c108BFloat16EflEEvPKT_PKlT1_SA_SA_SA_SA_SA_iiiiiiiiPS5_.num_named_barrier, 0
	.set _ZN2at6native12_GLOBAL__N_122max_pool_backward_nchwIN3c108BFloat16EflEEvPKT_PKlT1_SA_SA_SA_SA_SA_iiiiiiiiPS5_.private_seg_size, 0
	.set _ZN2at6native12_GLOBAL__N_122max_pool_backward_nchwIN3c108BFloat16EflEEvPKT_PKlT1_SA_SA_SA_SA_SA_iiiiiiiiPS5_.uses_vcc, 1
	.set _ZN2at6native12_GLOBAL__N_122max_pool_backward_nchwIN3c108BFloat16EflEEvPKT_PKlT1_SA_SA_SA_SA_SA_iiiiiiiiPS5_.uses_flat_scratch, 0
	.set _ZN2at6native12_GLOBAL__N_122max_pool_backward_nchwIN3c108BFloat16EflEEvPKT_PKlT1_SA_SA_SA_SA_SA_iiiiiiiiPS5_.has_dyn_sized_stack, 0
	.set _ZN2at6native12_GLOBAL__N_122max_pool_backward_nchwIN3c108BFloat16EflEEvPKT_PKlT1_SA_SA_SA_SA_SA_iiiiiiiiPS5_.has_recursion, 0
	.set _ZN2at6native12_GLOBAL__N_122max_pool_backward_nchwIN3c108BFloat16EflEEvPKT_PKlT1_SA_SA_SA_SA_SA_iiiiiiiiPS5_.has_indirect_call, 0
	.section	.AMDGPU.csdata,"",@progbits
; Kernel info:
; codeLenInByte = 5044
; TotalNumSgprs: 93
; NumVgprs: 36
; ScratchSize: 0
; MemoryBound: 0
; FloatMode: 240
; IeeeMode: 1
; LDSByteSize: 0 bytes/workgroup (compile time only)
; SGPRBlocks: 11
; VGPRBlocks: 8
; NumSGPRsForWavesPerEU: 93
; NumVGPRsForWavesPerEU: 36
; Occupancy: 7
; WaveLimiterHint : 0
; COMPUTE_PGM_RSRC2:SCRATCH_EN: 0
; COMPUTE_PGM_RSRC2:USER_SGPR: 6
; COMPUTE_PGM_RSRC2:TRAP_HANDLER: 0
; COMPUTE_PGM_RSRC2:TGID_X_EN: 1
; COMPUTE_PGM_RSRC2:TGID_Y_EN: 1
; COMPUTE_PGM_RSRC2:TGID_Z_EN: 1
; COMPUTE_PGM_RSRC2:TIDIG_COMP_CNT: 0
	.section	.AMDGPU.gpr_maximums,"",@progbits
	.set amdgpu.max_num_vgpr, 0
	.set amdgpu.max_num_agpr, 0
	.set amdgpu.max_num_sgpr, 0
	.section	.AMDGPU.csdata,"",@progbits
	.type	__hip_cuid_2529e745bae0a9e5,@object ; @__hip_cuid_2529e745bae0a9e5
	.section	.bss,"aw",@nobits
	.globl	__hip_cuid_2529e745bae0a9e5
__hip_cuid_2529e745bae0a9e5:
	.byte	0                               ; 0x0
	.size	__hip_cuid_2529e745bae0a9e5, 1

	.ident	"AMD clang version 22.0.0git (https://github.com/RadeonOpenCompute/llvm-project roc-7.2.4 26084 f58b06dce1f9c15707c5f808fd002e18c2accf7e)"
	.section	".note.GNU-stack","",@progbits
	.addrsig
	.addrsig_sym __hip_cuid_2529e745bae0a9e5
	.amdgpu_metadata
---
amdhsa.kernels:
  - .args:
      - .address_space:  global
        .offset:         0
        .size:           8
        .value_kind:     global_buffer
      - .offset:         8
        .size:           4
        .value_kind:     by_value
      - .offset:         12
        .size:           4
        .value_kind:     by_value
      - .offset:         16
        .size:           4
        .value_kind:     by_value
      - .offset:         20
        .size:           4
        .value_kind:     by_value
      - .offset:         24
        .size:           4
        .value_kind:     by_value
      - .offset:         28
        .size:           4
        .value_kind:     by_value
      - .offset:         32
        .size:           4
        .value_kind:     by_value
      - .offset:         36
        .size:           4
        .value_kind:     by_value
      - .offset:         40
        .size:           4
        .value_kind:     by_value
      - .offset:         44
        .size:           4
        .value_kind:     by_value
      - .offset:         48
        .size:           4
        .value_kind:     by_value
      - .offset:         52
        .size:           4
        .value_kind:     by_value
      - .offset:         56
        .size:           4
        .value_kind:     by_value
      - .offset:         60
        .size:           4
        .value_kind:     by_value
      - .offset:         64
        .size:           4
        .value_kind:     by_value
      - .offset:         68
        .size:           4
        .value_kind:     by_value
      - .offset:         72
        .size:           4
        .value_kind:     by_value
      - .offset:         76
        .size:           4
        .value_kind:     by_value
      - .offset:         80
        .size:           4
        .value_kind:     by_value
      - .offset:         84
        .size:           4
        .value_kind:     by_value
      - .address_space:  global
        .offset:         88
        .size:           8
        .value_kind:     global_buffer
      - .address_space:  global
        .offset:         96
        .size:           8
        .value_kind:     global_buffer
      - .offset:         104
        .size:           4
        .value_kind:     hidden_block_count_x
      - .offset:         108
        .size:           4
        .value_kind:     hidden_block_count_y
      - .offset:         112
        .size:           4
        .value_kind:     hidden_block_count_z
      - .offset:         116
        .size:           2
        .value_kind:     hidden_group_size_x
      - .offset:         118
        .size:           2
        .value_kind:     hidden_group_size_y
      - .offset:         120
        .size:           2
        .value_kind:     hidden_group_size_z
      - .offset:         122
        .size:           2
        .value_kind:     hidden_remainder_x
      - .offset:         124
        .size:           2
        .value_kind:     hidden_remainder_y
      - .offset:         126
        .size:           2
        .value_kind:     hidden_remainder_z
      - .offset:         144
        .size:           8
        .value_kind:     hidden_global_offset_x
      - .offset:         152
        .size:           8
        .value_kind:     hidden_global_offset_y
      - .offset:         160
        .size:           8
        .value_kind:     hidden_global_offset_z
      - .offset:         168
        .size:           2
        .value_kind:     hidden_grid_dims
      - .offset:         224
        .size:           4
        .value_kind:     hidden_dynamic_lds_size
    .group_segment_fixed_size: 0
    .kernarg_segment_align: 8
    .kernarg_segment_size: 360
    .language:       OpenCL C
    .language_version:
      - 2
      - 0
    .max_flat_workgroup_size: 256
    .name:           _ZN2at6native12_GLOBAL__N_121max_pool_forward_nhwcIdiEEvPKT_iT0_S6_S6_S6_S6_iiiiiiiiS6_S6_S6_S6_iiPS3_Pl
    .private_segment_fixed_size: 0
    .sgpr_count:     71
    .sgpr_spill_count: 0
    .symbol:         _ZN2at6native12_GLOBAL__N_121max_pool_forward_nhwcIdiEEvPKT_iT0_S6_S6_S6_S6_iiiiiiiiS6_S6_S6_S6_iiPS3_Pl.kd
    .uniform_work_group_size: 1
    .uses_dynamic_stack: false
    .vgpr_count:     52
    .vgpr_spill_count: 0
    .wavefront_size: 64
  - .args:
      - .address_space:  global
        .offset:         0
        .size:           8
        .value_kind:     global_buffer
      - .offset:         8
        .size:           4
        .value_kind:     by_value
      - .offset:         16
        .size:           8
        .value_kind:     by_value
      - .offset:         24
        .size:           8
        .value_kind:     by_value
      - .offset:         32
        .size:           8
        .value_kind:     by_value
      - .offset:         40
        .size:           8
        .value_kind:     by_value
      - .offset:         48
        .size:           8
        .value_kind:     by_value
      - .offset:         56
        .size:           4
        .value_kind:     by_value
      - .offset:         60
        .size:           4
        .value_kind:     by_value
      - .offset:         64
        .size:           4
        .value_kind:     by_value
      - .offset:         68
        .size:           4
        .value_kind:     by_value
      - .offset:         72
        .size:           4
        .value_kind:     by_value
      - .offset:         76
        .size:           4
        .value_kind:     by_value
      - .offset:         80
        .size:           4
        .value_kind:     by_value
      - .offset:         84
        .size:           4
        .value_kind:     by_value
      - .offset:         88
        .size:           8
        .value_kind:     by_value
      - .offset:         96
        .size:           8
        .value_kind:     by_value
      - .offset:         104
        .size:           8
        .value_kind:     by_value
      - .offset:         112
        .size:           8
        .value_kind:     by_value
      - .offset:         120
        .size:           4
        .value_kind:     by_value
      - .offset:         124
        .size:           4
        .value_kind:     by_value
      - .address_space:  global
        .offset:         128
        .size:           8
        .value_kind:     global_buffer
      - .address_space:  global
        .offset:         136
        .size:           8
        .value_kind:     global_buffer
      - .offset:         144
        .size:           4
        .value_kind:     hidden_block_count_x
      - .offset:         148
        .size:           4
        .value_kind:     hidden_block_count_y
      - .offset:         152
        .size:           4
        .value_kind:     hidden_block_count_z
      - .offset:         156
        .size:           2
        .value_kind:     hidden_group_size_x
      - .offset:         158
        .size:           2
        .value_kind:     hidden_group_size_y
      - .offset:         160
        .size:           2
        .value_kind:     hidden_group_size_z
      - .offset:         162
        .size:           2
        .value_kind:     hidden_remainder_x
      - .offset:         164
        .size:           2
        .value_kind:     hidden_remainder_y
      - .offset:         166
        .size:           2
        .value_kind:     hidden_remainder_z
      - .offset:         184
        .size:           8
        .value_kind:     hidden_global_offset_x
      - .offset:         192
        .size:           8
        .value_kind:     hidden_global_offset_y
      - .offset:         200
        .size:           8
        .value_kind:     hidden_global_offset_z
      - .offset:         208
        .size:           2
        .value_kind:     hidden_grid_dims
      - .offset:         264
        .size:           4
        .value_kind:     hidden_dynamic_lds_size
    .group_segment_fixed_size: 0
    .kernarg_segment_align: 8
    .kernarg_segment_size: 400
    .language:       OpenCL C
    .language_version:
      - 2
      - 0
    .max_flat_workgroup_size: 256
    .name:           _ZN2at6native12_GLOBAL__N_121max_pool_forward_nhwcIdlEEvPKT_iT0_S6_S6_S6_S6_iiiiiiiiS6_S6_S6_S6_iiPS3_Pl
    .private_segment_fixed_size: 0
    .sgpr_count:     84
    .sgpr_spill_count: 0
    .symbol:         _ZN2at6native12_GLOBAL__N_121max_pool_forward_nhwcIdlEEvPKT_iT0_S6_S6_S6_S6_iiiiiiiiS6_S6_S6_S6_iiPS3_Pl.kd
    .uniform_work_group_size: 1
    .uses_dynamic_stack: false
    .vgpr_count:     64
    .vgpr_spill_count: 0
    .wavefront_size: 64
  - .args:
      - .offset:         0
        .size:           4
        .value_kind:     by_value
      - .address_space:  global
        .offset:         8
        .size:           8
        .value_kind:     global_buffer
      - .offset:         16
        .size:           8
        .value_kind:     by_value
      - .offset:         24
        .size:           8
        .value_kind:     by_value
      - .offset:         32
        .size:           8
        .value_kind:     by_value
      - .offset:         40
        .size:           4
        .value_kind:     by_value
      - .offset:         44
        .size:           4
        .value_kind:     by_value
      - .offset:         48
        .size:           4
        .value_kind:     by_value
      - .offset:         52
        .size:           4
        .value_kind:     by_value
      - .offset:         56
        .size:           4
        .value_kind:     by_value
      - .offset:         60
        .size:           4
        .value_kind:     by_value
      - .offset:         64
        .size:           4
        .value_kind:     by_value
      - .offset:         68
        .size:           4
        .value_kind:     by_value
      - .offset:         72
        .size:           4
        .value_kind:     by_value
      - .offset:         76
        .size:           4
        .value_kind:     by_value
      - .address_space:  global
        .offset:         80
        .size:           8
        .value_kind:     global_buffer
      - .address_space:  global
        .offset:         88
        .size:           8
        .value_kind:     global_buffer
      - .offset:         96
        .size:           4
        .value_kind:     hidden_block_count_x
      - .offset:         100
        .size:           4
        .value_kind:     hidden_block_count_y
      - .offset:         104
        .size:           4
        .value_kind:     hidden_block_count_z
      - .offset:         108
        .size:           2
        .value_kind:     hidden_group_size_x
      - .offset:         110
        .size:           2
        .value_kind:     hidden_group_size_y
      - .offset:         112
        .size:           2
        .value_kind:     hidden_group_size_z
      - .offset:         114
        .size:           2
        .value_kind:     hidden_remainder_x
      - .offset:         116
        .size:           2
        .value_kind:     hidden_remainder_y
      - .offset:         118
        .size:           2
        .value_kind:     hidden_remainder_z
      - .offset:         136
        .size:           8
        .value_kind:     hidden_global_offset_x
      - .offset:         144
        .size:           8
        .value_kind:     hidden_global_offset_y
      - .offset:         152
        .size:           8
        .value_kind:     hidden_global_offset_z
      - .offset:         160
        .size:           2
        .value_kind:     hidden_grid_dims
    .group_segment_fixed_size: 0
    .kernarg_segment_align: 8
    .kernarg_segment_size: 352
    .language:       OpenCL C
    .language_version:
      - 2
      - 0
    .max_flat_workgroup_size: 1024
    .name:           _ZN2at6native12_GLOBAL__N_121max_pool_forward_nchwIdiEEvT0_PKT_llliiiiiiiiiiPS4_Pl
    .private_segment_fixed_size: 0
    .sgpr_count:     58
    .sgpr_spill_count: 0
    .symbol:         _ZN2at6native12_GLOBAL__N_121max_pool_forward_nchwIdiEEvT0_PKT_llliiiiiiiiiiPS4_Pl.kd
    .uniform_work_group_size: 1
    .uses_dynamic_stack: false
    .vgpr_count:     23
    .vgpr_spill_count: 0
    .wavefront_size: 64
  - .args:
      - .offset:         0
        .size:           8
        .value_kind:     by_value
      - .address_space:  global
        .offset:         8
        .size:           8
        .value_kind:     global_buffer
      - .offset:         16
        .size:           8
        .value_kind:     by_value
      - .offset:         24
        .size:           8
        .value_kind:     by_value
      - .offset:         32
        .size:           8
        .value_kind:     by_value
      - .offset:         40
        .size:           4
        .value_kind:     by_value
      - .offset:         44
        .size:           4
        .value_kind:     by_value
      - .offset:         48
        .size:           4
        .value_kind:     by_value
      - .offset:         52
        .size:           4
        .value_kind:     by_value
      - .offset:         56
        .size:           4
        .value_kind:     by_value
      - .offset:         60
        .size:           4
        .value_kind:     by_value
      - .offset:         64
        .size:           4
        .value_kind:     by_value
      - .offset:         68
        .size:           4
        .value_kind:     by_value
      - .offset:         72
        .size:           4
        .value_kind:     by_value
      - .offset:         76
        .size:           4
        .value_kind:     by_value
      - .address_space:  global
        .offset:         80
        .size:           8
        .value_kind:     global_buffer
      - .address_space:  global
        .offset:         88
        .size:           8
        .value_kind:     global_buffer
      - .offset:         96
        .size:           4
        .value_kind:     hidden_block_count_x
      - .offset:         100
        .size:           4
        .value_kind:     hidden_block_count_y
      - .offset:         104
        .size:           4
        .value_kind:     hidden_block_count_z
      - .offset:         108
        .size:           2
        .value_kind:     hidden_group_size_x
      - .offset:         110
        .size:           2
        .value_kind:     hidden_group_size_y
      - .offset:         112
        .size:           2
        .value_kind:     hidden_group_size_z
      - .offset:         114
        .size:           2
        .value_kind:     hidden_remainder_x
      - .offset:         116
        .size:           2
        .value_kind:     hidden_remainder_y
      - .offset:         118
        .size:           2
        .value_kind:     hidden_remainder_z
      - .offset:         136
        .size:           8
        .value_kind:     hidden_global_offset_x
      - .offset:         144
        .size:           8
        .value_kind:     hidden_global_offset_y
      - .offset:         152
        .size:           8
        .value_kind:     hidden_global_offset_z
      - .offset:         160
        .size:           2
        .value_kind:     hidden_grid_dims
    .group_segment_fixed_size: 0
    .kernarg_segment_align: 8
    .kernarg_segment_size: 352
    .language:       OpenCL C
    .language_version:
      - 2
      - 0
    .max_flat_workgroup_size: 1024
    .name:           _ZN2at6native12_GLOBAL__N_121max_pool_forward_nchwIdlEEvT0_PKT_llliiiiiiiiiiPS4_Pl
    .private_segment_fixed_size: 0
    .sgpr_count:     64
    .sgpr_spill_count: 0
    .symbol:         _ZN2at6native12_GLOBAL__N_121max_pool_forward_nchwIdlEEvT0_PKT_llliiiiiiiiiiPS4_Pl.kd
    .uniform_work_group_size: 1
    .uses_dynamic_stack: false
    .vgpr_count:     23
    .vgpr_spill_count: 0
    .wavefront_size: 64
  - .args:
      - .address_space:  global
        .offset:         0
        .size:           8
        .value_kind:     global_buffer
      - .offset:         8
        .size:           4
        .value_kind:     by_value
      - .offset:         12
        .size:           4
        .value_kind:     by_value
      - .offset:         16
        .size:           4
        .value_kind:     by_value
      - .offset:         20
        .size:           4
        .value_kind:     by_value
      - .offset:         24
        .size:           4
        .value_kind:     by_value
      - .offset:         28
        .size:           4
        .value_kind:     by_value
      - .offset:         32
        .size:           4
        .value_kind:     by_value
      - .offset:         36
        .size:           4
        .value_kind:     by_value
      - .offset:         40
        .size:           4
        .value_kind:     by_value
      - .offset:         44
        .size:           4
        .value_kind:     by_value
      - .offset:         48
        .size:           4
        .value_kind:     by_value
      - .offset:         52
        .size:           4
        .value_kind:     by_value
      - .offset:         56
        .size:           4
        .value_kind:     by_value
      - .offset:         60
        .size:           4
        .value_kind:     by_value
      - .offset:         64
        .size:           4
        .value_kind:     by_value
      - .offset:         68
        .size:           4
        .value_kind:     by_value
      - .offset:         72
        .size:           4
        .value_kind:     by_value
      - .offset:         76
        .size:           4
        .value_kind:     by_value
      - .offset:         80
        .size:           4
        .value_kind:     by_value
      - .offset:         84
        .size:           4
        .value_kind:     by_value
      - .address_space:  global
        .offset:         88
        .size:           8
        .value_kind:     global_buffer
      - .address_space:  global
        .offset:         96
        .size:           8
        .value_kind:     global_buffer
      - .offset:         104
        .size:           4
        .value_kind:     hidden_block_count_x
      - .offset:         108
        .size:           4
        .value_kind:     hidden_block_count_y
      - .offset:         112
        .size:           4
        .value_kind:     hidden_block_count_z
      - .offset:         116
        .size:           2
        .value_kind:     hidden_group_size_x
      - .offset:         118
        .size:           2
        .value_kind:     hidden_group_size_y
      - .offset:         120
        .size:           2
        .value_kind:     hidden_group_size_z
      - .offset:         122
        .size:           2
        .value_kind:     hidden_remainder_x
      - .offset:         124
        .size:           2
        .value_kind:     hidden_remainder_y
      - .offset:         126
        .size:           2
        .value_kind:     hidden_remainder_z
      - .offset:         144
        .size:           8
        .value_kind:     hidden_global_offset_x
      - .offset:         152
        .size:           8
        .value_kind:     hidden_global_offset_y
      - .offset:         160
        .size:           8
        .value_kind:     hidden_global_offset_z
      - .offset:         168
        .size:           2
        .value_kind:     hidden_grid_dims
      - .offset:         224
        .size:           4
        .value_kind:     hidden_dynamic_lds_size
    .group_segment_fixed_size: 0
    .kernarg_segment_align: 8
    .kernarg_segment_size: 360
    .language:       OpenCL C
    .language_version:
      - 2
      - 0
    .max_flat_workgroup_size: 256
    .name:           _ZN2at6native12_GLOBAL__N_121max_pool_forward_nhwcIfiEEvPKT_iT0_S6_S6_S6_S6_iiiiiiiiS6_S6_S6_S6_iiPS3_Pl
    .private_segment_fixed_size: 0
    .sgpr_count:     68
    .sgpr_spill_count: 0
    .symbol:         _ZN2at6native12_GLOBAL__N_121max_pool_forward_nhwcIfiEEvPKT_iT0_S6_S6_S6_S6_iiiiiiiiS6_S6_S6_S6_iiPS3_Pl.kd
    .uniform_work_group_size: 1
    .uses_dynamic_stack: false
    .vgpr_count:     47
    .vgpr_spill_count: 0
    .wavefront_size: 64
  - .args:
      - .address_space:  global
        .offset:         0
        .size:           8
        .value_kind:     global_buffer
      - .offset:         8
        .size:           4
        .value_kind:     by_value
      - .offset:         16
        .size:           8
        .value_kind:     by_value
      - .offset:         24
        .size:           8
        .value_kind:     by_value
      - .offset:         32
        .size:           8
        .value_kind:     by_value
      - .offset:         40
        .size:           8
        .value_kind:     by_value
      - .offset:         48
        .size:           8
        .value_kind:     by_value
      - .offset:         56
        .size:           4
        .value_kind:     by_value
      - .offset:         60
        .size:           4
        .value_kind:     by_value
      - .offset:         64
        .size:           4
        .value_kind:     by_value
      - .offset:         68
        .size:           4
        .value_kind:     by_value
      - .offset:         72
        .size:           4
        .value_kind:     by_value
      - .offset:         76
        .size:           4
        .value_kind:     by_value
      - .offset:         80
        .size:           4
        .value_kind:     by_value
      - .offset:         84
        .size:           4
        .value_kind:     by_value
      - .offset:         88
        .size:           8
        .value_kind:     by_value
      - .offset:         96
        .size:           8
        .value_kind:     by_value
      - .offset:         104
        .size:           8
        .value_kind:     by_value
      - .offset:         112
        .size:           8
        .value_kind:     by_value
      - .offset:         120
        .size:           4
        .value_kind:     by_value
      - .offset:         124
        .size:           4
        .value_kind:     by_value
      - .address_space:  global
        .offset:         128
        .size:           8
        .value_kind:     global_buffer
      - .address_space:  global
        .offset:         136
        .size:           8
        .value_kind:     global_buffer
      - .offset:         144
        .size:           4
        .value_kind:     hidden_block_count_x
      - .offset:         148
        .size:           4
        .value_kind:     hidden_block_count_y
      - .offset:         152
        .size:           4
        .value_kind:     hidden_block_count_z
      - .offset:         156
        .size:           2
        .value_kind:     hidden_group_size_x
      - .offset:         158
        .size:           2
        .value_kind:     hidden_group_size_y
      - .offset:         160
        .size:           2
        .value_kind:     hidden_group_size_z
      - .offset:         162
        .size:           2
        .value_kind:     hidden_remainder_x
      - .offset:         164
        .size:           2
        .value_kind:     hidden_remainder_y
      - .offset:         166
        .size:           2
        .value_kind:     hidden_remainder_z
      - .offset:         184
        .size:           8
        .value_kind:     hidden_global_offset_x
      - .offset:         192
        .size:           8
        .value_kind:     hidden_global_offset_y
      - .offset:         200
        .size:           8
        .value_kind:     hidden_global_offset_z
      - .offset:         208
        .size:           2
        .value_kind:     hidden_grid_dims
      - .offset:         264
        .size:           4
        .value_kind:     hidden_dynamic_lds_size
    .group_segment_fixed_size: 0
    .kernarg_segment_align: 8
    .kernarg_segment_size: 400
    .language:       OpenCL C
    .language_version:
      - 2
      - 0
    .max_flat_workgroup_size: 256
    .name:           _ZN2at6native12_GLOBAL__N_121max_pool_forward_nhwcIflEEvPKT_iT0_S6_S6_S6_S6_iiiiiiiiS6_S6_S6_S6_iiPS3_Pl
    .private_segment_fixed_size: 0
    .sgpr_count:     85
    .sgpr_spill_count: 0
    .symbol:         _ZN2at6native12_GLOBAL__N_121max_pool_forward_nhwcIflEEvPKT_iT0_S6_S6_S6_S6_iiiiiiiiS6_S6_S6_S6_iiPS3_Pl.kd
    .uniform_work_group_size: 1
    .uses_dynamic_stack: false
    .vgpr_count:     62
    .vgpr_spill_count: 0
    .wavefront_size: 64
  - .args:
      - .offset:         0
        .size:           4
        .value_kind:     by_value
      - .address_space:  global
        .offset:         8
        .size:           8
        .value_kind:     global_buffer
      - .offset:         16
        .size:           8
        .value_kind:     by_value
      - .offset:         24
        .size:           8
        .value_kind:     by_value
      - .offset:         32
        .size:           8
        .value_kind:     by_value
      - .offset:         40
        .size:           4
        .value_kind:     by_value
      - .offset:         44
        .size:           4
        .value_kind:     by_value
      - .offset:         48
        .size:           4
        .value_kind:     by_value
      - .offset:         52
        .size:           4
        .value_kind:     by_value
      - .offset:         56
        .size:           4
        .value_kind:     by_value
      - .offset:         60
        .size:           4
        .value_kind:     by_value
      - .offset:         64
        .size:           4
        .value_kind:     by_value
      - .offset:         68
        .size:           4
        .value_kind:     by_value
      - .offset:         72
        .size:           4
        .value_kind:     by_value
      - .offset:         76
        .size:           4
        .value_kind:     by_value
      - .address_space:  global
        .offset:         80
        .size:           8
        .value_kind:     global_buffer
      - .address_space:  global
        .offset:         88
        .size:           8
        .value_kind:     global_buffer
      - .offset:         96
        .size:           4
        .value_kind:     hidden_block_count_x
      - .offset:         100
        .size:           4
        .value_kind:     hidden_block_count_y
      - .offset:         104
        .size:           4
        .value_kind:     hidden_block_count_z
      - .offset:         108
        .size:           2
        .value_kind:     hidden_group_size_x
      - .offset:         110
        .size:           2
        .value_kind:     hidden_group_size_y
      - .offset:         112
        .size:           2
        .value_kind:     hidden_group_size_z
      - .offset:         114
        .size:           2
        .value_kind:     hidden_remainder_x
      - .offset:         116
        .size:           2
        .value_kind:     hidden_remainder_y
      - .offset:         118
        .size:           2
        .value_kind:     hidden_remainder_z
      - .offset:         136
        .size:           8
        .value_kind:     hidden_global_offset_x
      - .offset:         144
        .size:           8
        .value_kind:     hidden_global_offset_y
      - .offset:         152
        .size:           8
        .value_kind:     hidden_global_offset_z
      - .offset:         160
        .size:           2
        .value_kind:     hidden_grid_dims
    .group_segment_fixed_size: 0
    .kernarg_segment_align: 8
    .kernarg_segment_size: 352
    .language:       OpenCL C
    .language_version:
      - 2
      - 0
    .max_flat_workgroup_size: 1024
    .name:           _ZN2at6native12_GLOBAL__N_121max_pool_forward_nchwIfiEEvT0_PKT_llliiiiiiiiiiPS4_Pl
    .private_segment_fixed_size: 0
    .sgpr_count:     58
    .sgpr_spill_count: 0
    .symbol:         _ZN2at6native12_GLOBAL__N_121max_pool_forward_nchwIfiEEvT0_PKT_llliiiiiiiiiiPS4_Pl.kd
    .uniform_work_group_size: 1
    .uses_dynamic_stack: false
    .vgpr_count:     21
    .vgpr_spill_count: 0
    .wavefront_size: 64
  - .args:
      - .offset:         0
        .size:           8
        .value_kind:     by_value
      - .address_space:  global
        .offset:         8
        .size:           8
        .value_kind:     global_buffer
      - .offset:         16
        .size:           8
        .value_kind:     by_value
      - .offset:         24
        .size:           8
        .value_kind:     by_value
      - .offset:         32
        .size:           8
        .value_kind:     by_value
      - .offset:         40
        .size:           4
        .value_kind:     by_value
      - .offset:         44
        .size:           4
        .value_kind:     by_value
      - .offset:         48
        .size:           4
        .value_kind:     by_value
      - .offset:         52
        .size:           4
        .value_kind:     by_value
      - .offset:         56
        .size:           4
        .value_kind:     by_value
      - .offset:         60
        .size:           4
        .value_kind:     by_value
      - .offset:         64
        .size:           4
        .value_kind:     by_value
      - .offset:         68
        .size:           4
        .value_kind:     by_value
      - .offset:         72
        .size:           4
        .value_kind:     by_value
      - .offset:         76
        .size:           4
        .value_kind:     by_value
      - .address_space:  global
        .offset:         80
        .size:           8
        .value_kind:     global_buffer
      - .address_space:  global
        .offset:         88
        .size:           8
        .value_kind:     global_buffer
      - .offset:         96
        .size:           4
        .value_kind:     hidden_block_count_x
      - .offset:         100
        .size:           4
        .value_kind:     hidden_block_count_y
      - .offset:         104
        .size:           4
        .value_kind:     hidden_block_count_z
      - .offset:         108
        .size:           2
        .value_kind:     hidden_group_size_x
      - .offset:         110
        .size:           2
        .value_kind:     hidden_group_size_y
      - .offset:         112
        .size:           2
        .value_kind:     hidden_group_size_z
      - .offset:         114
        .size:           2
        .value_kind:     hidden_remainder_x
      - .offset:         116
        .size:           2
        .value_kind:     hidden_remainder_y
      - .offset:         118
        .size:           2
        .value_kind:     hidden_remainder_z
      - .offset:         136
        .size:           8
        .value_kind:     hidden_global_offset_x
      - .offset:         144
        .size:           8
        .value_kind:     hidden_global_offset_y
      - .offset:         152
        .size:           8
        .value_kind:     hidden_global_offset_z
      - .offset:         160
        .size:           2
        .value_kind:     hidden_grid_dims
    .group_segment_fixed_size: 0
    .kernarg_segment_align: 8
    .kernarg_segment_size: 352
    .language:       OpenCL C
    .language_version:
      - 2
      - 0
    .max_flat_workgroup_size: 1024
    .name:           _ZN2at6native12_GLOBAL__N_121max_pool_forward_nchwIflEEvT0_PKT_llliiiiiiiiiiPS4_Pl
    .private_segment_fixed_size: 0
    .sgpr_count:     64
    .sgpr_spill_count: 0
    .symbol:         _ZN2at6native12_GLOBAL__N_121max_pool_forward_nchwIflEEvT0_PKT_llliiiiiiiiiiPS4_Pl.kd
    .uniform_work_group_size: 1
    .uses_dynamic_stack: false
    .vgpr_count:     23
    .vgpr_spill_count: 0
    .wavefront_size: 64
  - .args:
      - .address_space:  global
        .offset:         0
        .size:           8
        .value_kind:     global_buffer
      - .offset:         8
        .size:           4
        .value_kind:     by_value
      - .offset:         12
        .size:           4
        .value_kind:     by_value
      - .offset:         16
        .size:           4
        .value_kind:     by_value
      - .offset:         20
        .size:           4
        .value_kind:     by_value
      - .offset:         24
        .size:           4
        .value_kind:     by_value
      - .offset:         28
        .size:           4
        .value_kind:     by_value
      - .offset:         32
        .size:           4
        .value_kind:     by_value
      - .offset:         36
        .size:           4
        .value_kind:     by_value
      - .offset:         40
        .size:           4
        .value_kind:     by_value
      - .offset:         44
        .size:           4
        .value_kind:     by_value
      - .offset:         48
        .size:           4
        .value_kind:     by_value
      - .offset:         52
        .size:           4
        .value_kind:     by_value
      - .offset:         56
        .size:           4
        .value_kind:     by_value
      - .offset:         60
        .size:           4
        .value_kind:     by_value
      - .offset:         64
        .size:           4
        .value_kind:     by_value
      - .offset:         68
        .size:           4
        .value_kind:     by_value
      - .offset:         72
        .size:           4
        .value_kind:     by_value
      - .offset:         76
        .size:           4
        .value_kind:     by_value
      - .offset:         80
        .size:           4
        .value_kind:     by_value
      - .offset:         84
        .size:           4
        .value_kind:     by_value
      - .address_space:  global
        .offset:         88
        .size:           8
        .value_kind:     global_buffer
      - .address_space:  global
        .offset:         96
        .size:           8
        .value_kind:     global_buffer
      - .offset:         104
        .size:           4
        .value_kind:     hidden_block_count_x
      - .offset:         108
        .size:           4
        .value_kind:     hidden_block_count_y
      - .offset:         112
        .size:           4
        .value_kind:     hidden_block_count_z
      - .offset:         116
        .size:           2
        .value_kind:     hidden_group_size_x
      - .offset:         118
        .size:           2
        .value_kind:     hidden_group_size_y
      - .offset:         120
        .size:           2
        .value_kind:     hidden_group_size_z
      - .offset:         122
        .size:           2
        .value_kind:     hidden_remainder_x
      - .offset:         124
        .size:           2
        .value_kind:     hidden_remainder_y
      - .offset:         126
        .size:           2
        .value_kind:     hidden_remainder_z
      - .offset:         144
        .size:           8
        .value_kind:     hidden_global_offset_x
      - .offset:         152
        .size:           8
        .value_kind:     hidden_global_offset_y
      - .offset:         160
        .size:           8
        .value_kind:     hidden_global_offset_z
      - .offset:         168
        .size:           2
        .value_kind:     hidden_grid_dims
      - .offset:         224
        .size:           4
        .value_kind:     hidden_dynamic_lds_size
    .group_segment_fixed_size: 0
    .kernarg_segment_align: 8
    .kernarg_segment_size: 360
    .language:       OpenCL C
    .language_version:
      - 2
      - 0
    .max_flat_workgroup_size: 256
    .name:           _ZN2at6native12_GLOBAL__N_121max_pool_forward_nhwcIN3c104HalfEiEEvPKT_iT0_S8_S8_S8_S8_iiiiiiiiS8_S8_S8_S8_iiPS5_Pl
    .private_segment_fixed_size: 0
    .sgpr_count:     69
    .sgpr_spill_count: 0
    .symbol:         _ZN2at6native12_GLOBAL__N_121max_pool_forward_nhwcIN3c104HalfEiEEvPKT_iT0_S8_S8_S8_S8_iiiiiiiiS8_S8_S8_S8_iiPS5_Pl.kd
    .uniform_work_group_size: 1
    .uses_dynamic_stack: false
    .vgpr_count:     46
    .vgpr_spill_count: 0
    .wavefront_size: 64
  - .args:
      - .address_space:  global
        .offset:         0
        .size:           8
        .value_kind:     global_buffer
      - .offset:         8
        .size:           4
        .value_kind:     by_value
      - .offset:         16
        .size:           8
        .value_kind:     by_value
      - .offset:         24
        .size:           8
        .value_kind:     by_value
      - .offset:         32
        .size:           8
        .value_kind:     by_value
      - .offset:         40
        .size:           8
        .value_kind:     by_value
      - .offset:         48
        .size:           8
        .value_kind:     by_value
      - .offset:         56
        .size:           4
        .value_kind:     by_value
      - .offset:         60
        .size:           4
        .value_kind:     by_value
      - .offset:         64
        .size:           4
        .value_kind:     by_value
      - .offset:         68
        .size:           4
        .value_kind:     by_value
      - .offset:         72
        .size:           4
        .value_kind:     by_value
      - .offset:         76
        .size:           4
        .value_kind:     by_value
      - .offset:         80
        .size:           4
        .value_kind:     by_value
      - .offset:         84
        .size:           4
        .value_kind:     by_value
      - .offset:         88
        .size:           8
        .value_kind:     by_value
      - .offset:         96
        .size:           8
        .value_kind:     by_value
      - .offset:         104
        .size:           8
        .value_kind:     by_value
      - .offset:         112
        .size:           8
        .value_kind:     by_value
      - .offset:         120
        .size:           4
        .value_kind:     by_value
      - .offset:         124
        .size:           4
        .value_kind:     by_value
      - .address_space:  global
        .offset:         128
        .size:           8
        .value_kind:     global_buffer
      - .address_space:  global
        .offset:         136
        .size:           8
        .value_kind:     global_buffer
      - .offset:         144
        .size:           4
        .value_kind:     hidden_block_count_x
      - .offset:         148
        .size:           4
        .value_kind:     hidden_block_count_y
      - .offset:         152
        .size:           4
        .value_kind:     hidden_block_count_z
      - .offset:         156
        .size:           2
        .value_kind:     hidden_group_size_x
      - .offset:         158
        .size:           2
        .value_kind:     hidden_group_size_y
      - .offset:         160
        .size:           2
        .value_kind:     hidden_group_size_z
      - .offset:         162
        .size:           2
        .value_kind:     hidden_remainder_x
      - .offset:         164
        .size:           2
        .value_kind:     hidden_remainder_y
      - .offset:         166
        .size:           2
        .value_kind:     hidden_remainder_z
      - .offset:         184
        .size:           8
        .value_kind:     hidden_global_offset_x
      - .offset:         192
        .size:           8
        .value_kind:     hidden_global_offset_y
      - .offset:         200
        .size:           8
        .value_kind:     hidden_global_offset_z
      - .offset:         208
        .size:           2
        .value_kind:     hidden_grid_dims
      - .offset:         264
        .size:           4
        .value_kind:     hidden_dynamic_lds_size
    .group_segment_fixed_size: 0
    .kernarg_segment_align: 8
    .kernarg_segment_size: 400
    .language:       OpenCL C
    .language_version:
      - 2
      - 0
    .max_flat_workgroup_size: 256
    .name:           _ZN2at6native12_GLOBAL__N_121max_pool_forward_nhwcIN3c104HalfElEEvPKT_iT0_S8_S8_S8_S8_iiiiiiiiS8_S8_S8_S8_iiPS5_Pl
    .private_segment_fixed_size: 0
    .sgpr_count:     85
    .sgpr_spill_count: 0
    .symbol:         _ZN2at6native12_GLOBAL__N_121max_pool_forward_nhwcIN3c104HalfElEEvPKT_iT0_S8_S8_S8_S8_iiiiiiiiS8_S8_S8_S8_iiPS5_Pl.kd
    .uniform_work_group_size: 1
    .uses_dynamic_stack: false
    .vgpr_count:     62
    .vgpr_spill_count: 0
    .wavefront_size: 64
  - .args:
      - .offset:         0
        .size:           4
        .value_kind:     by_value
      - .address_space:  global
        .offset:         8
        .size:           8
        .value_kind:     global_buffer
      - .offset:         16
        .size:           8
        .value_kind:     by_value
      - .offset:         24
        .size:           8
        .value_kind:     by_value
      - .offset:         32
        .size:           8
        .value_kind:     by_value
      - .offset:         40
        .size:           4
        .value_kind:     by_value
      - .offset:         44
        .size:           4
        .value_kind:     by_value
      - .offset:         48
        .size:           4
        .value_kind:     by_value
      - .offset:         52
        .size:           4
        .value_kind:     by_value
      - .offset:         56
        .size:           4
        .value_kind:     by_value
      - .offset:         60
        .size:           4
        .value_kind:     by_value
      - .offset:         64
        .size:           4
        .value_kind:     by_value
      - .offset:         68
        .size:           4
        .value_kind:     by_value
      - .offset:         72
        .size:           4
        .value_kind:     by_value
      - .offset:         76
        .size:           4
        .value_kind:     by_value
      - .address_space:  global
        .offset:         80
        .size:           8
        .value_kind:     global_buffer
      - .address_space:  global
        .offset:         88
        .size:           8
        .value_kind:     global_buffer
      - .offset:         96
        .size:           4
        .value_kind:     hidden_block_count_x
      - .offset:         100
        .size:           4
        .value_kind:     hidden_block_count_y
      - .offset:         104
        .size:           4
        .value_kind:     hidden_block_count_z
      - .offset:         108
        .size:           2
        .value_kind:     hidden_group_size_x
      - .offset:         110
        .size:           2
        .value_kind:     hidden_group_size_y
      - .offset:         112
        .size:           2
        .value_kind:     hidden_group_size_z
      - .offset:         114
        .size:           2
        .value_kind:     hidden_remainder_x
      - .offset:         116
        .size:           2
        .value_kind:     hidden_remainder_y
      - .offset:         118
        .size:           2
        .value_kind:     hidden_remainder_z
      - .offset:         136
        .size:           8
        .value_kind:     hidden_global_offset_x
      - .offset:         144
        .size:           8
        .value_kind:     hidden_global_offset_y
      - .offset:         152
        .size:           8
        .value_kind:     hidden_global_offset_z
      - .offset:         160
        .size:           2
        .value_kind:     hidden_grid_dims
    .group_segment_fixed_size: 0
    .kernarg_segment_align: 8
    .kernarg_segment_size: 352
    .language:       OpenCL C
    .language_version:
      - 2
      - 0
    .max_flat_workgroup_size: 1024
    .name:           _ZN2at6native12_GLOBAL__N_121max_pool_forward_nchwIN3c104HalfEiEEvT0_PKT_llliiiiiiiiiiPS6_Pl
    .private_segment_fixed_size: 0
    .sgpr_count:     58
    .sgpr_spill_count: 0
    .symbol:         _ZN2at6native12_GLOBAL__N_121max_pool_forward_nchwIN3c104HalfEiEEvT0_PKT_llliiiiiiiiiiPS6_Pl.kd
    .uniform_work_group_size: 1
    .uses_dynamic_stack: false
    .vgpr_count:     21
    .vgpr_spill_count: 0
    .wavefront_size: 64
  - .args:
      - .offset:         0
        .size:           8
        .value_kind:     by_value
      - .address_space:  global
        .offset:         8
        .size:           8
        .value_kind:     global_buffer
      - .offset:         16
        .size:           8
        .value_kind:     by_value
      - .offset:         24
        .size:           8
        .value_kind:     by_value
      - .offset:         32
        .size:           8
        .value_kind:     by_value
      - .offset:         40
        .size:           4
        .value_kind:     by_value
      - .offset:         44
        .size:           4
        .value_kind:     by_value
      - .offset:         48
        .size:           4
        .value_kind:     by_value
      - .offset:         52
        .size:           4
        .value_kind:     by_value
      - .offset:         56
        .size:           4
        .value_kind:     by_value
      - .offset:         60
        .size:           4
        .value_kind:     by_value
      - .offset:         64
        .size:           4
        .value_kind:     by_value
      - .offset:         68
        .size:           4
        .value_kind:     by_value
      - .offset:         72
        .size:           4
        .value_kind:     by_value
      - .offset:         76
        .size:           4
        .value_kind:     by_value
      - .address_space:  global
        .offset:         80
        .size:           8
        .value_kind:     global_buffer
      - .address_space:  global
        .offset:         88
        .size:           8
        .value_kind:     global_buffer
      - .offset:         96
        .size:           4
        .value_kind:     hidden_block_count_x
      - .offset:         100
        .size:           4
        .value_kind:     hidden_block_count_y
      - .offset:         104
        .size:           4
        .value_kind:     hidden_block_count_z
      - .offset:         108
        .size:           2
        .value_kind:     hidden_group_size_x
      - .offset:         110
        .size:           2
        .value_kind:     hidden_group_size_y
      - .offset:         112
        .size:           2
        .value_kind:     hidden_group_size_z
      - .offset:         114
        .size:           2
        .value_kind:     hidden_remainder_x
      - .offset:         116
        .size:           2
        .value_kind:     hidden_remainder_y
      - .offset:         118
        .size:           2
        .value_kind:     hidden_remainder_z
      - .offset:         136
        .size:           8
        .value_kind:     hidden_global_offset_x
      - .offset:         144
        .size:           8
        .value_kind:     hidden_global_offset_y
      - .offset:         152
        .size:           8
        .value_kind:     hidden_global_offset_z
      - .offset:         160
        .size:           2
        .value_kind:     hidden_grid_dims
    .group_segment_fixed_size: 0
    .kernarg_segment_align: 8
    .kernarg_segment_size: 352
    .language:       OpenCL C
    .language_version:
      - 2
      - 0
    .max_flat_workgroup_size: 1024
    .name:           _ZN2at6native12_GLOBAL__N_121max_pool_forward_nchwIN3c104HalfElEEvT0_PKT_llliiiiiiiiiiPS6_Pl
    .private_segment_fixed_size: 0
    .sgpr_count:     64
    .sgpr_spill_count: 0
    .symbol:         _ZN2at6native12_GLOBAL__N_121max_pool_forward_nchwIN3c104HalfElEEvT0_PKT_llliiiiiiiiiiPS6_Pl.kd
    .uniform_work_group_size: 1
    .uses_dynamic_stack: false
    .vgpr_count:     23
    .vgpr_spill_count: 0
    .wavefront_size: 64
  - .args:
      - .address_space:  global
        .offset:         0
        .size:           8
        .value_kind:     global_buffer
      - .offset:         8
        .size:           4
        .value_kind:     by_value
      - .offset:         12
        .size:           4
        .value_kind:     by_value
      - .offset:         16
        .size:           4
        .value_kind:     by_value
      - .offset:         20
        .size:           4
        .value_kind:     by_value
      - .offset:         24
        .size:           4
        .value_kind:     by_value
      - .offset:         28
        .size:           4
        .value_kind:     by_value
      - .offset:         32
        .size:           4
        .value_kind:     by_value
      - .offset:         36
        .size:           4
        .value_kind:     by_value
      - .offset:         40
        .size:           4
        .value_kind:     by_value
      - .offset:         44
        .size:           4
        .value_kind:     by_value
      - .offset:         48
        .size:           4
        .value_kind:     by_value
      - .offset:         52
        .size:           4
        .value_kind:     by_value
      - .offset:         56
        .size:           4
        .value_kind:     by_value
      - .offset:         60
        .size:           4
        .value_kind:     by_value
      - .offset:         64
        .size:           4
        .value_kind:     by_value
      - .offset:         68
        .size:           4
        .value_kind:     by_value
      - .offset:         72
        .size:           4
        .value_kind:     by_value
      - .offset:         76
        .size:           4
        .value_kind:     by_value
      - .offset:         80
        .size:           4
        .value_kind:     by_value
      - .offset:         84
        .size:           4
        .value_kind:     by_value
      - .address_space:  global
        .offset:         88
        .size:           8
        .value_kind:     global_buffer
      - .address_space:  global
        .offset:         96
        .size:           8
        .value_kind:     global_buffer
      - .offset:         104
        .size:           4
        .value_kind:     hidden_block_count_x
      - .offset:         108
        .size:           4
        .value_kind:     hidden_block_count_y
      - .offset:         112
        .size:           4
        .value_kind:     hidden_block_count_z
      - .offset:         116
        .size:           2
        .value_kind:     hidden_group_size_x
      - .offset:         118
        .size:           2
        .value_kind:     hidden_group_size_y
      - .offset:         120
        .size:           2
        .value_kind:     hidden_group_size_z
      - .offset:         122
        .size:           2
        .value_kind:     hidden_remainder_x
      - .offset:         124
        .size:           2
        .value_kind:     hidden_remainder_y
      - .offset:         126
        .size:           2
        .value_kind:     hidden_remainder_z
      - .offset:         144
        .size:           8
        .value_kind:     hidden_global_offset_x
      - .offset:         152
        .size:           8
        .value_kind:     hidden_global_offset_y
      - .offset:         160
        .size:           8
        .value_kind:     hidden_global_offset_z
      - .offset:         168
        .size:           2
        .value_kind:     hidden_grid_dims
      - .offset:         224
        .size:           4
        .value_kind:     hidden_dynamic_lds_size
    .group_segment_fixed_size: 0
    .kernarg_segment_align: 8
    .kernarg_segment_size: 360
    .language:       OpenCL C
    .language_version:
      - 2
      - 0
    .max_flat_workgroup_size: 256
    .name:           _ZN2at6native12_GLOBAL__N_121max_pool_forward_nhwcIN3c108BFloat16EiEEvPKT_iT0_S8_S8_S8_S8_iiiiiiiiS8_S8_S8_S8_iiPS5_Pl
    .private_segment_fixed_size: 0
    .sgpr_count:     69
    .sgpr_spill_count: 0
    .symbol:         _ZN2at6native12_GLOBAL__N_121max_pool_forward_nhwcIN3c108BFloat16EiEEvPKT_iT0_S8_S8_S8_S8_iiiiiiiiS8_S8_S8_S8_iiPS5_Pl.kd
    .uniform_work_group_size: 1
    .uses_dynamic_stack: false
    .vgpr_count:     46
    .vgpr_spill_count: 0
    .wavefront_size: 64
  - .args:
      - .address_space:  global
        .offset:         0
        .size:           8
        .value_kind:     global_buffer
      - .offset:         8
        .size:           4
        .value_kind:     by_value
      - .offset:         16
        .size:           8
        .value_kind:     by_value
      - .offset:         24
        .size:           8
        .value_kind:     by_value
      - .offset:         32
        .size:           8
        .value_kind:     by_value
      - .offset:         40
        .size:           8
        .value_kind:     by_value
      - .offset:         48
        .size:           8
        .value_kind:     by_value
      - .offset:         56
        .size:           4
        .value_kind:     by_value
      - .offset:         60
        .size:           4
        .value_kind:     by_value
      - .offset:         64
        .size:           4
        .value_kind:     by_value
      - .offset:         68
        .size:           4
        .value_kind:     by_value
      - .offset:         72
        .size:           4
        .value_kind:     by_value
      - .offset:         76
        .size:           4
        .value_kind:     by_value
      - .offset:         80
        .size:           4
        .value_kind:     by_value
      - .offset:         84
        .size:           4
        .value_kind:     by_value
      - .offset:         88
        .size:           8
        .value_kind:     by_value
      - .offset:         96
        .size:           8
        .value_kind:     by_value
      - .offset:         104
        .size:           8
        .value_kind:     by_value
      - .offset:         112
        .size:           8
        .value_kind:     by_value
      - .offset:         120
        .size:           4
        .value_kind:     by_value
      - .offset:         124
        .size:           4
        .value_kind:     by_value
      - .address_space:  global
        .offset:         128
        .size:           8
        .value_kind:     global_buffer
      - .address_space:  global
        .offset:         136
        .size:           8
        .value_kind:     global_buffer
      - .offset:         144
        .size:           4
        .value_kind:     hidden_block_count_x
      - .offset:         148
        .size:           4
        .value_kind:     hidden_block_count_y
      - .offset:         152
        .size:           4
        .value_kind:     hidden_block_count_z
      - .offset:         156
        .size:           2
        .value_kind:     hidden_group_size_x
      - .offset:         158
        .size:           2
        .value_kind:     hidden_group_size_y
      - .offset:         160
        .size:           2
        .value_kind:     hidden_group_size_z
      - .offset:         162
        .size:           2
        .value_kind:     hidden_remainder_x
      - .offset:         164
        .size:           2
        .value_kind:     hidden_remainder_y
      - .offset:         166
        .size:           2
        .value_kind:     hidden_remainder_z
      - .offset:         184
        .size:           8
        .value_kind:     hidden_global_offset_x
      - .offset:         192
        .size:           8
        .value_kind:     hidden_global_offset_y
      - .offset:         200
        .size:           8
        .value_kind:     hidden_global_offset_z
      - .offset:         208
        .size:           2
        .value_kind:     hidden_grid_dims
      - .offset:         264
        .size:           4
        .value_kind:     hidden_dynamic_lds_size
    .group_segment_fixed_size: 0
    .kernarg_segment_align: 8
    .kernarg_segment_size: 400
    .language:       OpenCL C
    .language_version:
      - 2
      - 0
    .max_flat_workgroup_size: 256
    .name:           _ZN2at6native12_GLOBAL__N_121max_pool_forward_nhwcIN3c108BFloat16ElEEvPKT_iT0_S8_S8_S8_S8_iiiiiiiiS8_S8_S8_S8_iiPS5_Pl
    .private_segment_fixed_size: 0
    .sgpr_count:     85
    .sgpr_spill_count: 0
    .symbol:         _ZN2at6native12_GLOBAL__N_121max_pool_forward_nhwcIN3c108BFloat16ElEEvPKT_iT0_S8_S8_S8_S8_iiiiiiiiS8_S8_S8_S8_iiPS5_Pl.kd
    .uniform_work_group_size: 1
    .uses_dynamic_stack: false
    .vgpr_count:     62
    .vgpr_spill_count: 0
    .wavefront_size: 64
  - .args:
      - .offset:         0
        .size:           4
        .value_kind:     by_value
      - .address_space:  global
        .offset:         8
        .size:           8
        .value_kind:     global_buffer
      - .offset:         16
        .size:           8
        .value_kind:     by_value
      - .offset:         24
        .size:           8
        .value_kind:     by_value
      - .offset:         32
        .size:           8
        .value_kind:     by_value
      - .offset:         40
        .size:           4
        .value_kind:     by_value
      - .offset:         44
        .size:           4
        .value_kind:     by_value
      - .offset:         48
        .size:           4
        .value_kind:     by_value
      - .offset:         52
        .size:           4
        .value_kind:     by_value
      - .offset:         56
        .size:           4
        .value_kind:     by_value
      - .offset:         60
        .size:           4
        .value_kind:     by_value
      - .offset:         64
        .size:           4
        .value_kind:     by_value
      - .offset:         68
        .size:           4
        .value_kind:     by_value
      - .offset:         72
        .size:           4
        .value_kind:     by_value
      - .offset:         76
        .size:           4
        .value_kind:     by_value
      - .address_space:  global
        .offset:         80
        .size:           8
        .value_kind:     global_buffer
      - .address_space:  global
        .offset:         88
        .size:           8
        .value_kind:     global_buffer
      - .offset:         96
        .size:           4
        .value_kind:     hidden_block_count_x
      - .offset:         100
        .size:           4
        .value_kind:     hidden_block_count_y
      - .offset:         104
        .size:           4
        .value_kind:     hidden_block_count_z
      - .offset:         108
        .size:           2
        .value_kind:     hidden_group_size_x
      - .offset:         110
        .size:           2
        .value_kind:     hidden_group_size_y
      - .offset:         112
        .size:           2
        .value_kind:     hidden_group_size_z
      - .offset:         114
        .size:           2
        .value_kind:     hidden_remainder_x
      - .offset:         116
        .size:           2
        .value_kind:     hidden_remainder_y
      - .offset:         118
        .size:           2
        .value_kind:     hidden_remainder_z
      - .offset:         136
        .size:           8
        .value_kind:     hidden_global_offset_x
      - .offset:         144
        .size:           8
        .value_kind:     hidden_global_offset_y
      - .offset:         152
        .size:           8
        .value_kind:     hidden_global_offset_z
      - .offset:         160
        .size:           2
        .value_kind:     hidden_grid_dims
    .group_segment_fixed_size: 0
    .kernarg_segment_align: 8
    .kernarg_segment_size: 352
    .language:       OpenCL C
    .language_version:
      - 2
      - 0
    .max_flat_workgroup_size: 1024
    .name:           _ZN2at6native12_GLOBAL__N_121max_pool_forward_nchwIN3c108BFloat16EiEEvT0_PKT_llliiiiiiiiiiPS6_Pl
    .private_segment_fixed_size: 0
    .sgpr_count:     58
    .sgpr_spill_count: 0
    .symbol:         _ZN2at6native12_GLOBAL__N_121max_pool_forward_nchwIN3c108BFloat16EiEEvT0_PKT_llliiiiiiiiiiPS6_Pl.kd
    .uniform_work_group_size: 1
    .uses_dynamic_stack: false
    .vgpr_count:     22
    .vgpr_spill_count: 0
    .wavefront_size: 64
  - .args:
      - .offset:         0
        .size:           8
        .value_kind:     by_value
      - .address_space:  global
        .offset:         8
        .size:           8
        .value_kind:     global_buffer
      - .offset:         16
        .size:           8
        .value_kind:     by_value
      - .offset:         24
        .size:           8
        .value_kind:     by_value
      - .offset:         32
        .size:           8
        .value_kind:     by_value
      - .offset:         40
        .size:           4
        .value_kind:     by_value
      - .offset:         44
        .size:           4
        .value_kind:     by_value
      - .offset:         48
        .size:           4
        .value_kind:     by_value
      - .offset:         52
        .size:           4
        .value_kind:     by_value
      - .offset:         56
        .size:           4
        .value_kind:     by_value
      - .offset:         60
        .size:           4
        .value_kind:     by_value
      - .offset:         64
        .size:           4
        .value_kind:     by_value
      - .offset:         68
        .size:           4
        .value_kind:     by_value
      - .offset:         72
        .size:           4
        .value_kind:     by_value
      - .offset:         76
        .size:           4
        .value_kind:     by_value
      - .address_space:  global
        .offset:         80
        .size:           8
        .value_kind:     global_buffer
      - .address_space:  global
        .offset:         88
        .size:           8
        .value_kind:     global_buffer
      - .offset:         96
        .size:           4
        .value_kind:     hidden_block_count_x
      - .offset:         100
        .size:           4
        .value_kind:     hidden_block_count_y
      - .offset:         104
        .size:           4
        .value_kind:     hidden_block_count_z
      - .offset:         108
        .size:           2
        .value_kind:     hidden_group_size_x
      - .offset:         110
        .size:           2
        .value_kind:     hidden_group_size_y
      - .offset:         112
        .size:           2
        .value_kind:     hidden_group_size_z
      - .offset:         114
        .size:           2
        .value_kind:     hidden_remainder_x
      - .offset:         116
        .size:           2
        .value_kind:     hidden_remainder_y
      - .offset:         118
        .size:           2
        .value_kind:     hidden_remainder_z
      - .offset:         136
        .size:           8
        .value_kind:     hidden_global_offset_x
      - .offset:         144
        .size:           8
        .value_kind:     hidden_global_offset_y
      - .offset:         152
        .size:           8
        .value_kind:     hidden_global_offset_z
      - .offset:         160
        .size:           2
        .value_kind:     hidden_grid_dims
    .group_segment_fixed_size: 0
    .kernarg_segment_align: 8
    .kernarg_segment_size: 352
    .language:       OpenCL C
    .language_version:
      - 2
      - 0
    .max_flat_workgroup_size: 1024
    .name:           _ZN2at6native12_GLOBAL__N_121max_pool_forward_nchwIN3c108BFloat16ElEEvT0_PKT_llliiiiiiiiiiPS6_Pl
    .private_segment_fixed_size: 0
    .sgpr_count:     64
    .sgpr_spill_count: 0
    .symbol:         _ZN2at6native12_GLOBAL__N_121max_pool_forward_nchwIN3c108BFloat16ElEEvT0_PKT_llliiiiiiiiiiPS6_Pl.kd
    .uniform_work_group_size: 1
    .uses_dynamic_stack: false
    .vgpr_count:     23
    .vgpr_spill_count: 0
    .wavefront_size: 64
  - .args:
      - .address_space:  global
        .offset:         0
        .size:           8
        .value_kind:     global_buffer
      - .address_space:  global
        .offset:         8
        .size:           8
        .value_kind:     global_buffer
      - .offset:         16
        .size:           4
        .value_kind:     by_value
      - .offset:         24
        .size:           8
        .value_kind:     by_value
      - .offset:         32
        .size:           8
        .value_kind:     by_value
      - .offset:         40
        .size:           8
        .value_kind:     by_value
      - .offset:         48
        .size:           4
        .value_kind:     by_value
      - .offset:         52
        .size:           4
        .value_kind:     by_value
      - .offset:         56
        .size:           4
        .value_kind:     by_value
      - .offset:         60
        .size:           4
        .value_kind:     by_value
      - .offset:         64
        .size:           4
        .value_kind:     by_value
      - .offset:         68
        .size:           4
        .value_kind:     by_value
      - .offset:         72
        .size:           4
        .value_kind:     by_value
      - .offset:         76
        .size:           4
        .value_kind:     by_value
      - .offset:         80
        .size:           4
        .value_kind:     by_value
      - .offset:         84
        .size:           4
        .value_kind:     by_value
      - .offset:         88
        .size:           4
        .value_kind:     by_value
      - .offset:         92
        .size:           4
        .value_kind:     by_value
      - .offset:         96
        .size:           4
        .value_kind:     by_value
      - .offset:         100
        .size:           4
        .value_kind:     by_value
      - .offset:         104
        .size:           4
        .value_kind:     by_value
      - .address_space:  global
        .offset:         112
        .size:           8
        .value_kind:     global_buffer
      - .offset:         120
        .size:           4
        .value_kind:     hidden_block_count_x
      - .offset:         124
        .size:           4
        .value_kind:     hidden_block_count_y
      - .offset:         128
        .size:           4
        .value_kind:     hidden_block_count_z
      - .offset:         132
        .size:           2
        .value_kind:     hidden_group_size_x
      - .offset:         134
        .size:           2
        .value_kind:     hidden_group_size_y
      - .offset:         136
        .size:           2
        .value_kind:     hidden_group_size_z
      - .offset:         138
        .size:           2
        .value_kind:     hidden_remainder_x
      - .offset:         140
        .size:           2
        .value_kind:     hidden_remainder_y
      - .offset:         142
        .size:           2
        .value_kind:     hidden_remainder_z
      - .offset:         160
        .size:           8
        .value_kind:     hidden_global_offset_x
      - .offset:         168
        .size:           8
        .value_kind:     hidden_global_offset_y
      - .offset:         176
        .size:           8
        .value_kind:     hidden_global_offset_z
      - .offset:         184
        .size:           2
        .value_kind:     hidden_grid_dims
      - .offset:         240
        .size:           4
        .value_kind:     hidden_dynamic_lds_size
    .group_segment_fixed_size: 0
    .kernarg_segment_align: 8
    .kernarg_segment_size: 376
    .language:       OpenCL C
    .language_version:
      - 2
      - 0
    .max_flat_workgroup_size: 256
    .name:           _ZN2at6native12_GLOBAL__N_122max_pool_backward_nhwcIddEEvPKT_PKlillliiiiiiiiiiiiiiiPS3_
    .private_segment_fixed_size: 0
    .sgpr_count:     75
    .sgpr_spill_count: 0
    .symbol:         _ZN2at6native12_GLOBAL__N_122max_pool_backward_nhwcIddEEvPKT_PKlillliiiiiiiiiiiiiiiPS3_.kd
    .uniform_work_group_size: 1
    .uses_dynamic_stack: false
    .vgpr_count:     53
    .vgpr_spill_count: 0
    .wavefront_size: 64
  - .args:
      - .address_space:  global
        .offset:         0
        .size:           8
        .value_kind:     global_buffer
      - .address_space:  global
        .offset:         8
        .size:           8
        .value_kind:     global_buffer
      - .offset:         16
        .size:           4
        .value_kind:     by_value
      - .offset:         20
        .size:           4
        .value_kind:     by_value
      - .offset:         24
        .size:           4
        .value_kind:     by_value
      - .offset:         28
        .size:           4
        .value_kind:     by_value
      - .offset:         32
        .size:           4
        .value_kind:     by_value
      - .offset:         36
        .size:           4
        .value_kind:     by_value
      - .offset:         40
        .size:           4
        .value_kind:     by_value
      - .offset:         44
        .size:           4
        .value_kind:     by_value
      - .offset:         48
        .size:           4
        .value_kind:     by_value
      - .offset:         52
        .size:           4
        .value_kind:     by_value
      - .offset:         56
        .size:           4
        .value_kind:     by_value
      - .offset:         60
        .size:           4
        .value_kind:     by_value
      - .offset:         64
        .size:           4
        .value_kind:     by_value
      - .offset:         68
        .size:           4
        .value_kind:     by_value
      - .address_space:  global
        .offset:         72
        .size:           8
        .value_kind:     global_buffer
      - .offset:         80
        .size:           4
        .value_kind:     hidden_block_count_x
      - .offset:         84
        .size:           4
        .value_kind:     hidden_block_count_y
      - .offset:         88
        .size:           4
        .value_kind:     hidden_block_count_z
      - .offset:         92
        .size:           2
        .value_kind:     hidden_group_size_x
      - .offset:         94
        .size:           2
        .value_kind:     hidden_group_size_y
      - .offset:         96
        .size:           2
        .value_kind:     hidden_group_size_z
      - .offset:         98
        .size:           2
        .value_kind:     hidden_remainder_x
      - .offset:         100
        .size:           2
        .value_kind:     hidden_remainder_y
      - .offset:         102
        .size:           2
        .value_kind:     hidden_remainder_z
      - .offset:         120
        .size:           8
        .value_kind:     hidden_global_offset_x
      - .offset:         128
        .size:           8
        .value_kind:     hidden_global_offset_y
      - .offset:         136
        .size:           8
        .value_kind:     hidden_global_offset_z
      - .offset:         144
        .size:           2
        .value_kind:     hidden_grid_dims
    .group_segment_fixed_size: 0
    .kernarg_segment_align: 8
    .kernarg_segment_size: 336
    .language:       OpenCL C
    .language_version:
      - 2
      - 0
    .max_flat_workgroup_size: 256
    .name:           _ZN2at6native12_GLOBAL__N_122max_pool_backward_nchwIddiEEvPKT_PKlT1_S8_S8_S8_S8_S8_iiiiiiiiPS3_
    .private_segment_fixed_size: 0
    .sgpr_count:     65
    .sgpr_spill_count: 0
    .symbol:         _ZN2at6native12_GLOBAL__N_122max_pool_backward_nchwIddiEEvPKT_PKlT1_S8_S8_S8_S8_S8_iiiiiiiiPS3_.kd
    .uniform_work_group_size: 1
    .uses_dynamic_stack: false
    .vgpr_count:     21
    .vgpr_spill_count: 0
    .wavefront_size: 64
  - .args:
      - .address_space:  global
        .offset:         0
        .size:           8
        .value_kind:     global_buffer
      - .address_space:  global
        .offset:         8
        .size:           8
        .value_kind:     global_buffer
      - .offset:         16
        .size:           8
        .value_kind:     by_value
      - .offset:         24
        .size:           8
        .value_kind:     by_value
      - .offset:         32
        .size:           8
        .value_kind:     by_value
      - .offset:         40
        .size:           8
        .value_kind:     by_value
      - .offset:         48
        .size:           8
        .value_kind:     by_value
      - .offset:         56
        .size:           8
        .value_kind:     by_value
      - .offset:         64
        .size:           4
        .value_kind:     by_value
      - .offset:         68
        .size:           4
        .value_kind:     by_value
      - .offset:         72
        .size:           4
        .value_kind:     by_value
      - .offset:         76
        .size:           4
        .value_kind:     by_value
      - .offset:         80
        .size:           4
        .value_kind:     by_value
      - .offset:         84
        .size:           4
        .value_kind:     by_value
      - .offset:         88
        .size:           4
        .value_kind:     by_value
      - .offset:         92
        .size:           4
        .value_kind:     by_value
      - .address_space:  global
        .offset:         96
        .size:           8
        .value_kind:     global_buffer
      - .offset:         104
        .size:           4
        .value_kind:     hidden_block_count_x
      - .offset:         108
        .size:           4
        .value_kind:     hidden_block_count_y
      - .offset:         112
        .size:           4
        .value_kind:     hidden_block_count_z
      - .offset:         116
        .size:           2
        .value_kind:     hidden_group_size_x
      - .offset:         118
        .size:           2
        .value_kind:     hidden_group_size_y
      - .offset:         120
        .size:           2
        .value_kind:     hidden_group_size_z
      - .offset:         122
        .size:           2
        .value_kind:     hidden_remainder_x
      - .offset:         124
        .size:           2
        .value_kind:     hidden_remainder_y
      - .offset:         126
        .size:           2
        .value_kind:     hidden_remainder_z
      - .offset:         144
        .size:           8
        .value_kind:     hidden_global_offset_x
      - .offset:         152
        .size:           8
        .value_kind:     hidden_global_offset_y
      - .offset:         160
        .size:           8
        .value_kind:     hidden_global_offset_z
      - .offset:         168
        .size:           2
        .value_kind:     hidden_grid_dims
    .group_segment_fixed_size: 0
    .kernarg_segment_align: 8
    .kernarg_segment_size: 360
    .language:       OpenCL C
    .language_version:
      - 2
      - 0
    .max_flat_workgroup_size: 256
    .name:           _ZN2at6native12_GLOBAL__N_122max_pool_backward_nchwIddlEEvPKT_PKlT1_S8_S8_S8_S8_S8_iiiiiiiiPS3_
    .private_segment_fixed_size: 0
    .sgpr_count:     82
    .sgpr_spill_count: 0
    .symbol:         _ZN2at6native12_GLOBAL__N_122max_pool_backward_nchwIddlEEvPKT_PKlT1_S8_S8_S8_S8_S8_iiiiiiiiPS3_.kd
    .uniform_work_group_size: 1
    .uses_dynamic_stack: false
    .vgpr_count:     37
    .vgpr_spill_count: 0
    .wavefront_size: 64
  - .args:
      - .address_space:  global
        .offset:         0
        .size:           8
        .value_kind:     global_buffer
      - .address_space:  global
        .offset:         8
        .size:           8
        .value_kind:     global_buffer
      - .offset:         16
        .size:           4
        .value_kind:     by_value
      - .offset:         24
        .size:           8
        .value_kind:     by_value
      - .offset:         32
        .size:           8
        .value_kind:     by_value
      - .offset:         40
        .size:           8
        .value_kind:     by_value
      - .offset:         48
        .size:           4
        .value_kind:     by_value
      - .offset:         52
        .size:           4
        .value_kind:     by_value
      - .offset:         56
        .size:           4
        .value_kind:     by_value
      - .offset:         60
        .size:           4
        .value_kind:     by_value
      - .offset:         64
        .size:           4
        .value_kind:     by_value
      - .offset:         68
        .size:           4
        .value_kind:     by_value
      - .offset:         72
        .size:           4
        .value_kind:     by_value
      - .offset:         76
        .size:           4
        .value_kind:     by_value
      - .offset:         80
        .size:           4
        .value_kind:     by_value
      - .offset:         84
        .size:           4
        .value_kind:     by_value
      - .offset:         88
        .size:           4
        .value_kind:     by_value
      - .offset:         92
        .size:           4
        .value_kind:     by_value
      - .offset:         96
        .size:           4
        .value_kind:     by_value
      - .offset:         100
        .size:           4
        .value_kind:     by_value
      - .offset:         104
        .size:           4
        .value_kind:     by_value
      - .address_space:  global
        .offset:         112
        .size:           8
        .value_kind:     global_buffer
      - .offset:         120
        .size:           4
        .value_kind:     hidden_block_count_x
      - .offset:         124
        .size:           4
        .value_kind:     hidden_block_count_y
      - .offset:         128
        .size:           4
        .value_kind:     hidden_block_count_z
      - .offset:         132
        .size:           2
        .value_kind:     hidden_group_size_x
      - .offset:         134
        .size:           2
        .value_kind:     hidden_group_size_y
      - .offset:         136
        .size:           2
        .value_kind:     hidden_group_size_z
      - .offset:         138
        .size:           2
        .value_kind:     hidden_remainder_x
      - .offset:         140
        .size:           2
        .value_kind:     hidden_remainder_y
      - .offset:         142
        .size:           2
        .value_kind:     hidden_remainder_z
      - .offset:         160
        .size:           8
        .value_kind:     hidden_global_offset_x
      - .offset:         168
        .size:           8
        .value_kind:     hidden_global_offset_y
      - .offset:         176
        .size:           8
        .value_kind:     hidden_global_offset_z
      - .offset:         184
        .size:           2
        .value_kind:     hidden_grid_dims
      - .offset:         240
        .size:           4
        .value_kind:     hidden_dynamic_lds_size
    .group_segment_fixed_size: 0
    .kernarg_segment_align: 8
    .kernarg_segment_size: 376
    .language:       OpenCL C
    .language_version:
      - 2
      - 0
    .max_flat_workgroup_size: 256
    .name:           _ZN2at6native12_GLOBAL__N_122max_pool_backward_nhwcIffEEvPKT_PKlillliiiiiiiiiiiiiiiPS3_
    .private_segment_fixed_size: 0
    .sgpr_count:     75
    .sgpr_spill_count: 0
    .symbol:         _ZN2at6native12_GLOBAL__N_122max_pool_backward_nhwcIffEEvPKT_PKlillliiiiiiiiiiiiiiiPS3_.kd
    .uniform_work_group_size: 1
    .uses_dynamic_stack: false
    .vgpr_count:     47
    .vgpr_spill_count: 0
    .wavefront_size: 64
  - .args:
      - .address_space:  global
        .offset:         0
        .size:           8
        .value_kind:     global_buffer
      - .address_space:  global
        .offset:         8
        .size:           8
        .value_kind:     global_buffer
      - .offset:         16
        .size:           4
        .value_kind:     by_value
      - .offset:         20
        .size:           4
        .value_kind:     by_value
      - .offset:         24
        .size:           4
        .value_kind:     by_value
      - .offset:         28
        .size:           4
        .value_kind:     by_value
      - .offset:         32
        .size:           4
        .value_kind:     by_value
      - .offset:         36
        .size:           4
        .value_kind:     by_value
      - .offset:         40
        .size:           4
        .value_kind:     by_value
      - .offset:         44
        .size:           4
        .value_kind:     by_value
      - .offset:         48
        .size:           4
        .value_kind:     by_value
      - .offset:         52
        .size:           4
        .value_kind:     by_value
      - .offset:         56
        .size:           4
        .value_kind:     by_value
      - .offset:         60
        .size:           4
        .value_kind:     by_value
      - .offset:         64
        .size:           4
        .value_kind:     by_value
      - .offset:         68
        .size:           4
        .value_kind:     by_value
      - .address_space:  global
        .offset:         72
        .size:           8
        .value_kind:     global_buffer
      - .offset:         80
        .size:           4
        .value_kind:     hidden_block_count_x
      - .offset:         84
        .size:           4
        .value_kind:     hidden_block_count_y
      - .offset:         88
        .size:           4
        .value_kind:     hidden_block_count_z
      - .offset:         92
        .size:           2
        .value_kind:     hidden_group_size_x
      - .offset:         94
        .size:           2
        .value_kind:     hidden_group_size_y
      - .offset:         96
        .size:           2
        .value_kind:     hidden_group_size_z
      - .offset:         98
        .size:           2
        .value_kind:     hidden_remainder_x
      - .offset:         100
        .size:           2
        .value_kind:     hidden_remainder_y
      - .offset:         102
        .size:           2
        .value_kind:     hidden_remainder_z
      - .offset:         120
        .size:           8
        .value_kind:     hidden_global_offset_x
      - .offset:         128
        .size:           8
        .value_kind:     hidden_global_offset_y
      - .offset:         136
        .size:           8
        .value_kind:     hidden_global_offset_z
      - .offset:         144
        .size:           2
        .value_kind:     hidden_grid_dims
    .group_segment_fixed_size: 0
    .kernarg_segment_align: 8
    .kernarg_segment_size: 336
    .language:       OpenCL C
    .language_version:
      - 2
      - 0
    .max_flat_workgroup_size: 256
    .name:           _ZN2at6native12_GLOBAL__N_122max_pool_backward_nchwIffiEEvPKT_PKlT1_S8_S8_S8_S8_S8_iiiiiiiiPS3_
    .private_segment_fixed_size: 0
    .sgpr_count:     65
    .sgpr_spill_count: 0
    .symbol:         _ZN2at6native12_GLOBAL__N_122max_pool_backward_nchwIffiEEvPKT_PKlT1_S8_S8_S8_S8_S8_iiiiiiiiPS3_.kd
    .uniform_work_group_size: 1
    .uses_dynamic_stack: false
    .vgpr_count:     20
    .vgpr_spill_count: 0
    .wavefront_size: 64
  - .args:
      - .address_space:  global
        .offset:         0
        .size:           8
        .value_kind:     global_buffer
      - .address_space:  global
        .offset:         8
        .size:           8
        .value_kind:     global_buffer
      - .offset:         16
        .size:           8
        .value_kind:     by_value
      - .offset:         24
        .size:           8
        .value_kind:     by_value
      - .offset:         32
        .size:           8
        .value_kind:     by_value
      - .offset:         40
        .size:           8
        .value_kind:     by_value
      - .offset:         48
        .size:           8
        .value_kind:     by_value
      - .offset:         56
        .size:           8
        .value_kind:     by_value
      - .offset:         64
        .size:           4
        .value_kind:     by_value
      - .offset:         68
        .size:           4
        .value_kind:     by_value
      - .offset:         72
        .size:           4
        .value_kind:     by_value
      - .offset:         76
        .size:           4
        .value_kind:     by_value
      - .offset:         80
        .size:           4
        .value_kind:     by_value
      - .offset:         84
        .size:           4
        .value_kind:     by_value
      - .offset:         88
        .size:           4
        .value_kind:     by_value
      - .offset:         92
        .size:           4
        .value_kind:     by_value
      - .address_space:  global
        .offset:         96
        .size:           8
        .value_kind:     global_buffer
      - .offset:         104
        .size:           4
        .value_kind:     hidden_block_count_x
      - .offset:         108
        .size:           4
        .value_kind:     hidden_block_count_y
      - .offset:         112
        .size:           4
        .value_kind:     hidden_block_count_z
      - .offset:         116
        .size:           2
        .value_kind:     hidden_group_size_x
      - .offset:         118
        .size:           2
        .value_kind:     hidden_group_size_y
      - .offset:         120
        .size:           2
        .value_kind:     hidden_group_size_z
      - .offset:         122
        .size:           2
        .value_kind:     hidden_remainder_x
      - .offset:         124
        .size:           2
        .value_kind:     hidden_remainder_y
      - .offset:         126
        .size:           2
        .value_kind:     hidden_remainder_z
      - .offset:         144
        .size:           8
        .value_kind:     hidden_global_offset_x
      - .offset:         152
        .size:           8
        .value_kind:     hidden_global_offset_y
      - .offset:         160
        .size:           8
        .value_kind:     hidden_global_offset_z
      - .offset:         168
        .size:           2
        .value_kind:     hidden_grid_dims
    .group_segment_fixed_size: 0
    .kernarg_segment_align: 8
    .kernarg_segment_size: 360
    .language:       OpenCL C
    .language_version:
      - 2
      - 0
    .max_flat_workgroup_size: 256
    .name:           _ZN2at6native12_GLOBAL__N_122max_pool_backward_nchwIfflEEvPKT_PKlT1_S8_S8_S8_S8_S8_iiiiiiiiPS3_
    .private_segment_fixed_size: 0
    .sgpr_count:     92
    .sgpr_spill_count: 0
    .symbol:         _ZN2at6native12_GLOBAL__N_122max_pool_backward_nchwIfflEEvPKT_PKlT1_S8_S8_S8_S8_S8_iiiiiiiiPS3_.kd
    .uniform_work_group_size: 1
    .uses_dynamic_stack: false
    .vgpr_count:     36
    .vgpr_spill_count: 0
    .wavefront_size: 64
  - .args:
      - .address_space:  global
        .offset:         0
        .size:           8
        .value_kind:     global_buffer
      - .address_space:  global
        .offset:         8
        .size:           8
        .value_kind:     global_buffer
      - .offset:         16
        .size:           4
        .value_kind:     by_value
      - .offset:         24
        .size:           8
        .value_kind:     by_value
      - .offset:         32
        .size:           8
        .value_kind:     by_value
      - .offset:         40
        .size:           8
        .value_kind:     by_value
      - .offset:         48
        .size:           4
        .value_kind:     by_value
      - .offset:         52
        .size:           4
        .value_kind:     by_value
      - .offset:         56
        .size:           4
        .value_kind:     by_value
      - .offset:         60
        .size:           4
        .value_kind:     by_value
      - .offset:         64
        .size:           4
        .value_kind:     by_value
      - .offset:         68
        .size:           4
        .value_kind:     by_value
      - .offset:         72
        .size:           4
        .value_kind:     by_value
      - .offset:         76
        .size:           4
        .value_kind:     by_value
      - .offset:         80
        .size:           4
        .value_kind:     by_value
      - .offset:         84
        .size:           4
        .value_kind:     by_value
      - .offset:         88
        .size:           4
        .value_kind:     by_value
      - .offset:         92
        .size:           4
        .value_kind:     by_value
      - .offset:         96
        .size:           4
        .value_kind:     by_value
      - .offset:         100
        .size:           4
        .value_kind:     by_value
      - .offset:         104
        .size:           4
        .value_kind:     by_value
      - .address_space:  global
        .offset:         112
        .size:           8
        .value_kind:     global_buffer
      - .offset:         120
        .size:           4
        .value_kind:     hidden_block_count_x
      - .offset:         124
        .size:           4
        .value_kind:     hidden_block_count_y
      - .offset:         128
        .size:           4
        .value_kind:     hidden_block_count_z
      - .offset:         132
        .size:           2
        .value_kind:     hidden_group_size_x
      - .offset:         134
        .size:           2
        .value_kind:     hidden_group_size_y
      - .offset:         136
        .size:           2
        .value_kind:     hidden_group_size_z
      - .offset:         138
        .size:           2
        .value_kind:     hidden_remainder_x
      - .offset:         140
        .size:           2
        .value_kind:     hidden_remainder_y
      - .offset:         142
        .size:           2
        .value_kind:     hidden_remainder_z
      - .offset:         160
        .size:           8
        .value_kind:     hidden_global_offset_x
      - .offset:         168
        .size:           8
        .value_kind:     hidden_global_offset_y
      - .offset:         176
        .size:           8
        .value_kind:     hidden_global_offset_z
      - .offset:         184
        .size:           2
        .value_kind:     hidden_grid_dims
      - .offset:         240
        .size:           4
        .value_kind:     hidden_dynamic_lds_size
    .group_segment_fixed_size: 0
    .kernarg_segment_align: 8
    .kernarg_segment_size: 376
    .language:       OpenCL C
    .language_version:
      - 2
      - 0
    .max_flat_workgroup_size: 256
    .name:           _ZN2at6native12_GLOBAL__N_122max_pool_backward_nhwcIN3c104HalfEfEEvPKT_PKlillliiiiiiiiiiiiiiiPS5_
    .private_segment_fixed_size: 0
    .sgpr_count:     75
    .sgpr_spill_count: 0
    .symbol:         _ZN2at6native12_GLOBAL__N_122max_pool_backward_nhwcIN3c104HalfEfEEvPKT_PKlillliiiiiiiiiiiiiiiPS5_.kd
    .uniform_work_group_size: 1
    .uses_dynamic_stack: false
    .vgpr_count:     47
    .vgpr_spill_count: 0
    .wavefront_size: 64
  - .args:
      - .address_space:  global
        .offset:         0
        .size:           8
        .value_kind:     global_buffer
      - .address_space:  global
        .offset:         8
        .size:           8
        .value_kind:     global_buffer
      - .offset:         16
        .size:           4
        .value_kind:     by_value
      - .offset:         20
        .size:           4
        .value_kind:     by_value
      - .offset:         24
        .size:           4
        .value_kind:     by_value
      - .offset:         28
        .size:           4
        .value_kind:     by_value
      - .offset:         32
        .size:           4
        .value_kind:     by_value
      - .offset:         36
        .size:           4
        .value_kind:     by_value
      - .offset:         40
        .size:           4
        .value_kind:     by_value
      - .offset:         44
        .size:           4
        .value_kind:     by_value
      - .offset:         48
        .size:           4
        .value_kind:     by_value
      - .offset:         52
        .size:           4
        .value_kind:     by_value
      - .offset:         56
        .size:           4
        .value_kind:     by_value
      - .offset:         60
        .size:           4
        .value_kind:     by_value
      - .offset:         64
        .size:           4
        .value_kind:     by_value
      - .offset:         68
        .size:           4
        .value_kind:     by_value
      - .address_space:  global
        .offset:         72
        .size:           8
        .value_kind:     global_buffer
      - .offset:         80
        .size:           4
        .value_kind:     hidden_block_count_x
      - .offset:         84
        .size:           4
        .value_kind:     hidden_block_count_y
      - .offset:         88
        .size:           4
        .value_kind:     hidden_block_count_z
      - .offset:         92
        .size:           2
        .value_kind:     hidden_group_size_x
      - .offset:         94
        .size:           2
        .value_kind:     hidden_group_size_y
      - .offset:         96
        .size:           2
        .value_kind:     hidden_group_size_z
      - .offset:         98
        .size:           2
        .value_kind:     hidden_remainder_x
      - .offset:         100
        .size:           2
        .value_kind:     hidden_remainder_y
      - .offset:         102
        .size:           2
        .value_kind:     hidden_remainder_z
      - .offset:         120
        .size:           8
        .value_kind:     hidden_global_offset_x
      - .offset:         128
        .size:           8
        .value_kind:     hidden_global_offset_y
      - .offset:         136
        .size:           8
        .value_kind:     hidden_global_offset_z
      - .offset:         144
        .size:           2
        .value_kind:     hidden_grid_dims
    .group_segment_fixed_size: 0
    .kernarg_segment_align: 8
    .kernarg_segment_size: 336
    .language:       OpenCL C
    .language_version:
      - 2
      - 0
    .max_flat_workgroup_size: 256
    .name:           _ZN2at6native12_GLOBAL__N_122max_pool_backward_nchwIN3c104HalfEfiEEvPKT_PKlT1_SA_SA_SA_SA_SA_iiiiiiiiPS5_
    .private_segment_fixed_size: 0
    .sgpr_count:     65
    .sgpr_spill_count: 0
    .symbol:         _ZN2at6native12_GLOBAL__N_122max_pool_backward_nchwIN3c104HalfEfiEEvPKT_PKlT1_SA_SA_SA_SA_SA_iiiiiiiiPS5_.kd
    .uniform_work_group_size: 1
    .uses_dynamic_stack: false
    .vgpr_count:     20
    .vgpr_spill_count: 0
    .wavefront_size: 64
  - .args:
      - .address_space:  global
        .offset:         0
        .size:           8
        .value_kind:     global_buffer
      - .address_space:  global
        .offset:         8
        .size:           8
        .value_kind:     global_buffer
      - .offset:         16
        .size:           8
        .value_kind:     by_value
      - .offset:         24
        .size:           8
        .value_kind:     by_value
      - .offset:         32
        .size:           8
        .value_kind:     by_value
      - .offset:         40
        .size:           8
        .value_kind:     by_value
      - .offset:         48
        .size:           8
        .value_kind:     by_value
      - .offset:         56
        .size:           8
        .value_kind:     by_value
      - .offset:         64
        .size:           4
        .value_kind:     by_value
      - .offset:         68
        .size:           4
        .value_kind:     by_value
      - .offset:         72
        .size:           4
        .value_kind:     by_value
      - .offset:         76
        .size:           4
        .value_kind:     by_value
      - .offset:         80
        .size:           4
        .value_kind:     by_value
      - .offset:         84
        .size:           4
        .value_kind:     by_value
      - .offset:         88
        .size:           4
        .value_kind:     by_value
      - .offset:         92
        .size:           4
        .value_kind:     by_value
      - .address_space:  global
        .offset:         96
        .size:           8
        .value_kind:     global_buffer
      - .offset:         104
        .size:           4
        .value_kind:     hidden_block_count_x
      - .offset:         108
        .size:           4
        .value_kind:     hidden_block_count_y
      - .offset:         112
        .size:           4
        .value_kind:     hidden_block_count_z
      - .offset:         116
        .size:           2
        .value_kind:     hidden_group_size_x
      - .offset:         118
        .size:           2
        .value_kind:     hidden_group_size_y
      - .offset:         120
        .size:           2
        .value_kind:     hidden_group_size_z
      - .offset:         122
        .size:           2
        .value_kind:     hidden_remainder_x
      - .offset:         124
        .size:           2
        .value_kind:     hidden_remainder_y
      - .offset:         126
        .size:           2
        .value_kind:     hidden_remainder_z
      - .offset:         144
        .size:           8
        .value_kind:     hidden_global_offset_x
      - .offset:         152
        .size:           8
        .value_kind:     hidden_global_offset_y
      - .offset:         160
        .size:           8
        .value_kind:     hidden_global_offset_z
      - .offset:         168
        .size:           2
        .value_kind:     hidden_grid_dims
    .group_segment_fixed_size: 0
    .kernarg_segment_align: 8
    .kernarg_segment_size: 360
    .language:       OpenCL C
    .language_version:
      - 2
      - 0
    .max_flat_workgroup_size: 256
    .name:           _ZN2at6native12_GLOBAL__N_122max_pool_backward_nchwIN3c104HalfEflEEvPKT_PKlT1_SA_SA_SA_SA_SA_iiiiiiiiPS5_
    .private_segment_fixed_size: 0
    .sgpr_count:     92
    .sgpr_spill_count: 0
    .symbol:         _ZN2at6native12_GLOBAL__N_122max_pool_backward_nchwIN3c104HalfEflEEvPKT_PKlT1_SA_SA_SA_SA_SA_iiiiiiiiPS5_.kd
    .uniform_work_group_size: 1
    .uses_dynamic_stack: false
    .vgpr_count:     36
    .vgpr_spill_count: 0
    .wavefront_size: 64
  - .args:
      - .address_space:  global
        .offset:         0
        .size:           8
        .value_kind:     global_buffer
      - .address_space:  global
        .offset:         8
        .size:           8
        .value_kind:     global_buffer
      - .offset:         16
        .size:           4
        .value_kind:     by_value
      - .offset:         24
        .size:           8
        .value_kind:     by_value
      - .offset:         32
        .size:           8
        .value_kind:     by_value
      - .offset:         40
        .size:           8
        .value_kind:     by_value
      - .offset:         48
        .size:           4
        .value_kind:     by_value
      - .offset:         52
        .size:           4
        .value_kind:     by_value
      - .offset:         56
        .size:           4
        .value_kind:     by_value
      - .offset:         60
        .size:           4
        .value_kind:     by_value
      - .offset:         64
        .size:           4
        .value_kind:     by_value
      - .offset:         68
        .size:           4
        .value_kind:     by_value
      - .offset:         72
        .size:           4
        .value_kind:     by_value
      - .offset:         76
        .size:           4
        .value_kind:     by_value
      - .offset:         80
        .size:           4
        .value_kind:     by_value
      - .offset:         84
        .size:           4
        .value_kind:     by_value
      - .offset:         88
        .size:           4
        .value_kind:     by_value
      - .offset:         92
        .size:           4
        .value_kind:     by_value
      - .offset:         96
        .size:           4
        .value_kind:     by_value
      - .offset:         100
        .size:           4
        .value_kind:     by_value
      - .offset:         104
        .size:           4
        .value_kind:     by_value
      - .address_space:  global
        .offset:         112
        .size:           8
        .value_kind:     global_buffer
      - .offset:         120
        .size:           4
        .value_kind:     hidden_block_count_x
      - .offset:         124
        .size:           4
        .value_kind:     hidden_block_count_y
      - .offset:         128
        .size:           4
        .value_kind:     hidden_block_count_z
      - .offset:         132
        .size:           2
        .value_kind:     hidden_group_size_x
      - .offset:         134
        .size:           2
        .value_kind:     hidden_group_size_y
      - .offset:         136
        .size:           2
        .value_kind:     hidden_group_size_z
      - .offset:         138
        .size:           2
        .value_kind:     hidden_remainder_x
      - .offset:         140
        .size:           2
        .value_kind:     hidden_remainder_y
      - .offset:         142
        .size:           2
        .value_kind:     hidden_remainder_z
      - .offset:         160
        .size:           8
        .value_kind:     hidden_global_offset_x
      - .offset:         168
        .size:           8
        .value_kind:     hidden_global_offset_y
      - .offset:         176
        .size:           8
        .value_kind:     hidden_global_offset_z
      - .offset:         184
        .size:           2
        .value_kind:     hidden_grid_dims
      - .offset:         240
        .size:           4
        .value_kind:     hidden_dynamic_lds_size
    .group_segment_fixed_size: 0
    .kernarg_segment_align: 8
    .kernarg_segment_size: 376
    .language:       OpenCL C
    .language_version:
      - 2
      - 0
    .max_flat_workgroup_size: 256
    .name:           _ZN2at6native12_GLOBAL__N_122max_pool_backward_nhwcIN3c108BFloat16EfEEvPKT_PKlillliiiiiiiiiiiiiiiPS5_
    .private_segment_fixed_size: 0
    .sgpr_count:     78
    .sgpr_spill_count: 0
    .symbol:         _ZN2at6native12_GLOBAL__N_122max_pool_backward_nhwcIN3c108BFloat16EfEEvPKT_PKlillliiiiiiiiiiiiiiiPS5_.kd
    .uniform_work_group_size: 1
    .uses_dynamic_stack: false
    .vgpr_count:     47
    .vgpr_spill_count: 0
    .wavefront_size: 64
  - .args:
      - .address_space:  global
        .offset:         0
        .size:           8
        .value_kind:     global_buffer
      - .address_space:  global
        .offset:         8
        .size:           8
        .value_kind:     global_buffer
      - .offset:         16
        .size:           4
        .value_kind:     by_value
      - .offset:         20
        .size:           4
        .value_kind:     by_value
      - .offset:         24
        .size:           4
        .value_kind:     by_value
      - .offset:         28
        .size:           4
        .value_kind:     by_value
      - .offset:         32
        .size:           4
        .value_kind:     by_value
      - .offset:         36
        .size:           4
        .value_kind:     by_value
      - .offset:         40
        .size:           4
        .value_kind:     by_value
      - .offset:         44
        .size:           4
        .value_kind:     by_value
      - .offset:         48
        .size:           4
        .value_kind:     by_value
      - .offset:         52
        .size:           4
        .value_kind:     by_value
      - .offset:         56
        .size:           4
        .value_kind:     by_value
      - .offset:         60
        .size:           4
        .value_kind:     by_value
      - .offset:         64
        .size:           4
        .value_kind:     by_value
      - .offset:         68
        .size:           4
        .value_kind:     by_value
      - .address_space:  global
        .offset:         72
        .size:           8
        .value_kind:     global_buffer
      - .offset:         80
        .size:           4
        .value_kind:     hidden_block_count_x
      - .offset:         84
        .size:           4
        .value_kind:     hidden_block_count_y
      - .offset:         88
        .size:           4
        .value_kind:     hidden_block_count_z
      - .offset:         92
        .size:           2
        .value_kind:     hidden_group_size_x
      - .offset:         94
        .size:           2
        .value_kind:     hidden_group_size_y
      - .offset:         96
        .size:           2
        .value_kind:     hidden_group_size_z
      - .offset:         98
        .size:           2
        .value_kind:     hidden_remainder_x
      - .offset:         100
        .size:           2
        .value_kind:     hidden_remainder_y
      - .offset:         102
        .size:           2
        .value_kind:     hidden_remainder_z
      - .offset:         120
        .size:           8
        .value_kind:     hidden_global_offset_x
      - .offset:         128
        .size:           8
        .value_kind:     hidden_global_offset_y
      - .offset:         136
        .size:           8
        .value_kind:     hidden_global_offset_z
      - .offset:         144
        .size:           2
        .value_kind:     hidden_grid_dims
    .group_segment_fixed_size: 0
    .kernarg_segment_align: 8
    .kernarg_segment_size: 336
    .language:       OpenCL C
    .language_version:
      - 2
      - 0
    .max_flat_workgroup_size: 256
    .name:           _ZN2at6native12_GLOBAL__N_122max_pool_backward_nchwIN3c108BFloat16EfiEEvPKT_PKlT1_SA_SA_SA_SA_SA_iiiiiiiiPS5_
    .private_segment_fixed_size: 0
    .sgpr_count:     66
    .sgpr_spill_count: 0
    .symbol:         _ZN2at6native12_GLOBAL__N_122max_pool_backward_nchwIN3c108BFloat16EfiEEvPKT_PKlT1_SA_SA_SA_SA_SA_iiiiiiiiPS5_.kd
    .uniform_work_group_size: 1
    .uses_dynamic_stack: false
    .vgpr_count:     21
    .vgpr_spill_count: 0
    .wavefront_size: 64
  - .args:
      - .address_space:  global
        .offset:         0
        .size:           8
        .value_kind:     global_buffer
      - .address_space:  global
        .offset:         8
        .size:           8
        .value_kind:     global_buffer
      - .offset:         16
        .size:           8
        .value_kind:     by_value
      - .offset:         24
        .size:           8
        .value_kind:     by_value
      - .offset:         32
        .size:           8
        .value_kind:     by_value
      - .offset:         40
        .size:           8
        .value_kind:     by_value
      - .offset:         48
        .size:           8
        .value_kind:     by_value
      - .offset:         56
        .size:           8
        .value_kind:     by_value
      - .offset:         64
        .size:           4
        .value_kind:     by_value
      - .offset:         68
        .size:           4
        .value_kind:     by_value
      - .offset:         72
        .size:           4
        .value_kind:     by_value
      - .offset:         76
        .size:           4
        .value_kind:     by_value
      - .offset:         80
        .size:           4
        .value_kind:     by_value
      - .offset:         84
        .size:           4
        .value_kind:     by_value
      - .offset:         88
        .size:           4
        .value_kind:     by_value
      - .offset:         92
        .size:           4
        .value_kind:     by_value
      - .address_space:  global
        .offset:         96
        .size:           8
        .value_kind:     global_buffer
      - .offset:         104
        .size:           4
        .value_kind:     hidden_block_count_x
      - .offset:         108
        .size:           4
        .value_kind:     hidden_block_count_y
      - .offset:         112
        .size:           4
        .value_kind:     hidden_block_count_z
      - .offset:         116
        .size:           2
        .value_kind:     hidden_group_size_x
      - .offset:         118
        .size:           2
        .value_kind:     hidden_group_size_y
      - .offset:         120
        .size:           2
        .value_kind:     hidden_group_size_z
      - .offset:         122
        .size:           2
        .value_kind:     hidden_remainder_x
      - .offset:         124
        .size:           2
        .value_kind:     hidden_remainder_y
      - .offset:         126
        .size:           2
        .value_kind:     hidden_remainder_z
      - .offset:         144
        .size:           8
        .value_kind:     hidden_global_offset_x
      - .offset:         152
        .size:           8
        .value_kind:     hidden_global_offset_y
      - .offset:         160
        .size:           8
        .value_kind:     hidden_global_offset_z
      - .offset:         168
        .size:           2
        .value_kind:     hidden_grid_dims
    .group_segment_fixed_size: 0
    .kernarg_segment_align: 8
    .kernarg_segment_size: 360
    .language:       OpenCL C
    .language_version:
      - 2
      - 0
    .max_flat_workgroup_size: 256
    .name:           _ZN2at6native12_GLOBAL__N_122max_pool_backward_nchwIN3c108BFloat16EflEEvPKT_PKlT1_SA_SA_SA_SA_SA_iiiiiiiiPS5_
    .private_segment_fixed_size: 0
    .sgpr_count:     93
    .sgpr_spill_count: 0
    .symbol:         _ZN2at6native12_GLOBAL__N_122max_pool_backward_nchwIN3c108BFloat16EflEEvPKT_PKlT1_SA_SA_SA_SA_SA_iiiiiiiiPS5_.kd
    .uniform_work_group_size: 1
    .uses_dynamic_stack: false
    .vgpr_count:     36
    .vgpr_spill_count: 0
    .wavefront_size: 64
amdhsa.target:   amdgcn-amd-amdhsa--gfx906
amdhsa.version:
  - 1
  - 2
...

	.end_amdgpu_metadata
